;; amdgpu-corpus repo=ROCm/rocSPARSE kind=compiled arch=gfx906 opt=O3
	.amdgcn_target "amdgcn-amd-amdhsa--gfx906"
	.amdhsa_code_object_version 6
	.section	.text._ZN9rocsparseL33gebsrmm_large_blockdim_kernel_extILi8ELi8ELi2EfEEv20rocsparse_direction_20rocsparse_operation_iiNS_24const_host_device_scalarIT2_EEPKiS7_PKS4_iiS9_lS5_PS4_l21rocsparse_index_base_b,"axG",@progbits,_ZN9rocsparseL33gebsrmm_large_blockdim_kernel_extILi8ELi8ELi2EfEEv20rocsparse_direction_20rocsparse_operation_iiNS_24const_host_device_scalarIT2_EEPKiS7_PKS4_iiS9_lS5_PS4_l21rocsparse_index_base_b,comdat
	.globl	_ZN9rocsparseL33gebsrmm_large_blockdim_kernel_extILi8ELi8ELi2EfEEv20rocsparse_direction_20rocsparse_operation_iiNS_24const_host_device_scalarIT2_EEPKiS7_PKS4_iiS9_lS5_PS4_l21rocsparse_index_base_b ; -- Begin function _ZN9rocsparseL33gebsrmm_large_blockdim_kernel_extILi8ELi8ELi2EfEEv20rocsparse_direction_20rocsparse_operation_iiNS_24const_host_device_scalarIT2_EEPKiS7_PKS4_iiS9_lS5_PS4_l21rocsparse_index_base_b
	.p2align	8
	.type	_ZN9rocsparseL33gebsrmm_large_blockdim_kernel_extILi8ELi8ELi2EfEEv20rocsparse_direction_20rocsparse_operation_iiNS_24const_host_device_scalarIT2_EEPKiS7_PKS4_iiS9_lS5_PS4_l21rocsparse_index_base_b,@function
_ZN9rocsparseL33gebsrmm_large_blockdim_kernel_extILi8ELi8ELi2EfEEv20rocsparse_direction_20rocsparse_operation_iiNS_24const_host_device_scalarIT2_EEPKiS7_PKS4_iiS9_lS5_PS4_l21rocsparse_index_base_b: ; @_ZN9rocsparseL33gebsrmm_large_blockdim_kernel_extILi8ELi8ELi2EfEEv20rocsparse_direction_20rocsparse_operation_iiNS_24const_host_device_scalarIT2_EEPKiS7_PKS4_iiS9_lS5_PS4_l21rocsparse_index_base_b
; %bb.0:
	s_load_dwordx2 s[26:27], s[4:5], 0x60
	s_load_dwordx2 s[24:25], s[4:5], 0x10
	s_load_dwordx4 s[12:15], s[4:5], 0x40
	s_waitcnt lgkmcnt(0)
	s_bitcmp1_b32 s27, 0
	s_cselect_b64 s[2:3], -1, 0
	s_xor_b64 s[0:1], s[2:3], -1
	s_and_b64 vcc, exec, s[2:3]
	s_cbranch_vccnz .LBB0_2
; %bb.1:
	s_load_dword s24, s[24:25], 0x0
.LBB0_2:
	s_andn2_b64 vcc, exec, s[0:1]
	s_cbranch_vccnz .LBB0_4
; %bb.3:
	s_load_dword s14, s[14:15], 0x0
.LBB0_4:
	s_waitcnt lgkmcnt(0)
	v_cmp_eq_f32_e64 s[0:1], s24, 0
	v_cmp_eq_f32_e64 s[2:3], s14, 1.0
	s_and_b64 s[0:1], s[0:1], s[2:3]
	s_mov_b32 s15, 0
	s_and_b64 vcc, exec, s[0:1]
	s_cbranch_vccnz .LBB0_45
; %bb.5:
	s_load_dwordx4 s[20:23], s[4:5], 0x0
	s_waitcnt lgkmcnt(0)
	s_cmp_lt_i32 s6, s22
	s_cselect_b64 s[28:29], -1, 0
	s_cmp_ge_i32 s6, s22
	s_mov_b32 s22, 0
	s_cbranch_scc1 .LBB0_7
; %bb.6:
	s_load_dwordx2 s[2:3], s[4:5], 0x18
	s_mov_b32 s0, s7
	s_ashr_i32 s7, s6, 31
	s_lshl_b64 s[8:9], s[6:7], 2
	s_mov_b32 s7, s0
	s_waitcnt lgkmcnt(0)
	s_add_u32 s0, s2, s8
	s_addc_u32 s1, s3, s9
	s_load_dwordx2 s[2:3], s[0:1], 0x0
	s_waitcnt lgkmcnt(0)
	s_sub_i32 s22, s2, s26
	s_sub_i32 s15, s3, s26
.LBB0_7:
	s_load_dwordx2 s[30:31], s[4:5], 0x50
	s_load_dwordx2 s[34:35], s[4:5], 0x30
	v_lshl_add_u32 v4, s7, 4, v1
	v_add_u32_e32 v2, 8, v4
	v_cmp_gt_i32_e64 s[2:3], s23, v4
	v_cmp_gt_i32_e64 s[0:1], s23, v2
	s_cmp_ge_i32 s22, s15
	s_waitcnt lgkmcnt(0)
	v_cmp_gt_i32_e64 s[8:9], s34, v0
	s_cbranch_scc1 .LBB0_35
; %bb.8:
	v_cmp_gt_i32_e32 vcc, s35, v1
	s_and_b64 s[38:39], s[8:9], vcc
	s_cmpk_lg_i32 s21, 0x6f
	s_cselect_b64 s[40:41], -1, 0
	s_cmp_eq_u32 s20, 0
	v_mad_u64_u32 v[6:7], s[20:21], s34, v1, v[0:1]
	v_ashrrev_i32_e32 v5, 31, v4
	v_mul_lo_u32 v11, s13, v4
	v_mul_lo_u32 v12, s12, v5
	v_mad_u64_u32 v[7:8], s[20:21], s12, v4, 0
	v_mov_b32_e32 v3, 0x200
	v_lshl_or_b32 v13, v1, 2, v3
	v_mad_u64_u32 v[9:10], s[20:21], s35, v0, v[1:2]
	v_ashrrev_i32_e32 v3, 31, v2
	v_lshlrev_b32_e32 v19, 5, v1
	v_add3_u32 v8, v8, v12, v11
	v_mul_lo_u32 v1, s13, v2
	v_mul_lo_u32 v12, s12, v3
	v_mad_u64_u32 v[10:11], s[20:21], s12, v2, 0
	s_load_dwordx4 s[16:19], s[4:5], 0x20
	s_load_dwordx2 s[36:37], s[4:5], 0x38
	s_cselect_b64 vcc, -1, 0
	s_cmp_gt_i32 s35, 0
	v_add3_u32 v11, v11, v12, v1
	v_lshlrev_b32_e32 v14, 5, v0
	s_cselect_b64 s[42:43], -1, 0
	v_cndmask_b32_e32 v20, v6, v9, vcc
	v_mov_b32_e32 v18, 0
	v_lshlrev_b64 v[5:6], 2, v[4:5]
	v_lshlrev_b64 v[7:8], 2, v[7:8]
	;; [unrolled: 1-line block ×4, first 2 shown]
	s_mul_i32 s7, s35, s34
	v_cmp_gt_i32_e64 s[10:11], s35, v0
	v_lshlrev_b32_e32 v17, 2, v0
	s_and_b64 s[20:21], s[2:3], s[42:43]
	s_and_b64 s[42:43], s[0:1], s[42:43]
	v_add_u32_e32 v21, 0x200, v14
	v_add_u32_e32 v22, 0x100, v19
	v_mov_b32_e32 v1, v18
	v_add_u32_e32 v3, v13, v14
	s_branch .LBB0_11
.LBB0_9:                                ;   in Loop: Header=BB0_11 Depth=1
	s_or_b64 exec, exec, s[46:47]
.LBB0_10:                               ;   in Loop: Header=BB0_11 Depth=1
	s_or_b64 exec, exec, s[44:45]
	s_add_i32 s22, s22, 1
	s_cmp_ge_i32 s22, s15
	; wave barrier
	s_cbranch_scc1 .LBB0_36
.LBB0_11:                               ; =>This Loop Header: Depth=1
                                        ;     Child Loop BB0_31 Depth 2
                                        ;     Child Loop BB0_34 Depth 2
	s_and_saveexec_b64 s[44:45], s[10:11]
	s_cbranch_execz .LBB0_26
; %bb.12:                               ;   in Loop: Header=BB0_11 Depth=1
	s_ashr_i32 s23, s22, 31
	s_lshl_b64 s[46:47], s[22:23], 2
	s_waitcnt lgkmcnt(0)
	s_add_u32 s46, s16, s46
	s_addc_u32 s47, s17, s47
	s_load_dword s23, s[46:47], 0x0
	s_andn2_b64 vcc, exec, s[40:41]
	s_waitcnt lgkmcnt(0)
	s_sub_i32 s23, s23, s26
	s_mul_i32 s23, s23, s35
	v_add_u32_e32 v13, s23, v0
	v_ashrrev_i32_e32 v14, 31, v13
	s_cbranch_vccnz .LBB0_18
; %bb.13:                               ;   in Loop: Header=BB0_11 Depth=1
	v_mul_lo_u32 v23, s13, v13
	v_mul_lo_u32 v24, s12, v14
	v_mad_u64_u32 v[15:16], s[46:47], s12, v13, 0
	v_add3_u32 v16, v16, v24, v23
	v_lshlrev_b64 v[15:16], 2, v[15:16]
	v_mov_b32_e32 v24, s37
	v_add_co_u32_e32 v23, vcc, s36, v15
	v_addc_co_u32_e32 v24, vcc, v24, v16, vcc
	s_and_saveexec_b64 s[46:47], s[2:3]
	s_cbranch_execz .LBB0_15
; %bb.14:                               ;   in Loop: Header=BB0_11 Depth=1
	v_add_co_u32_e32 v15, vcc, v23, v5
	v_addc_co_u32_e32 v16, vcc, v24, v6, vcc
	global_load_dword v15, v[15:16], off
	v_add_u32_e32 v16, v17, v19
	s_waitcnt vmcnt(0)
	ds_write_b32 v16, v15
.LBB0_15:                               ;   in Loop: Header=BB0_11 Depth=1
	s_or_b64 exec, exec, s[46:47]
	s_mov_b64 s[48:49], 0
	s_mov_b64 s[46:47], 0
                                        ; implicit-def: $vgpr15_vgpr16
	s_and_saveexec_b64 s[50:51], s[0:1]
	s_xor_b64 s[50:51], exec, s[50:51]
; %bb.16:                               ;   in Loop: Header=BB0_11 Depth=1
	v_add_co_u32_e32 v15, vcc, v23, v11
	s_mov_b64 s[46:47], exec
	v_addc_co_u32_e32 v16, vcc, v24, v12, vcc
; %bb.17:                               ;   in Loop: Header=BB0_11 Depth=1
	s_or_b64 exec, exec, s[50:51]
	s_and_b64 vcc, exec, s[48:49]
	s_cbranch_vccnz .LBB0_19
	s_branch .LBB0_24
.LBB0_18:                               ;   in Loop: Header=BB0_11 Depth=1
	s_mov_b64 s[46:47], 0
                                        ; implicit-def: $vgpr15_vgpr16
	s_cbranch_execz .LBB0_24
.LBB0_19:                               ;   in Loop: Header=BB0_11 Depth=1
	v_lshlrev_b64 v[13:14], 2, v[13:14]
	v_mov_b32_e32 v15, s37
	v_add_co_u32_e32 v13, vcc, s36, v13
	v_addc_co_u32_e32 v14, vcc, v15, v14, vcc
	s_and_saveexec_b64 s[48:49], s[2:3]
	s_cbranch_execz .LBB0_21
; %bb.20:                               ;   in Loop: Header=BB0_11 Depth=1
	v_add_co_u32_e32 v15, vcc, v13, v7
	v_addc_co_u32_e32 v16, vcc, v14, v8, vcc
	global_load_dword v15, v[15:16], off
	v_add_u32_e32 v16, v17, v19
	s_waitcnt vmcnt(0)
	ds_write_b32 v16, v15
.LBB0_21:                               ;   in Loop: Header=BB0_11 Depth=1
	s_or_b64 exec, exec, s[48:49]
                                        ; implicit-def: $vgpr15_vgpr16
	s_and_saveexec_b64 s[48:49], s[0:1]
; %bb.22:                               ;   in Loop: Header=BB0_11 Depth=1
	v_add_co_u32_e32 v15, vcc, v13, v9
	v_addc_co_u32_e32 v16, vcc, v14, v10, vcc
	s_or_b64 s[46:47], s[46:47], exec
; %bb.23:                               ;   in Loop: Header=BB0_11 Depth=1
	s_or_b64 exec, exec, s[48:49]
.LBB0_24:                               ;   in Loop: Header=BB0_11 Depth=1
	s_and_b64 exec, exec, s[46:47]
	s_cbranch_execz .LBB0_26
; %bb.25:                               ;   in Loop: Header=BB0_11 Depth=1
	global_load_dword v13, v[15:16], off
	v_add_u32_e32 v14, v17, v19
	s_waitcnt vmcnt(0)
	ds_write_b32 v14, v13 offset:256
.LBB0_26:                               ;   in Loop: Header=BB0_11 Depth=1
	s_or_b64 exec, exec, s[44:45]
	s_and_saveexec_b64 s[44:45], s[38:39]
	s_cbranch_execz .LBB0_28
; %bb.27:                               ;   in Loop: Header=BB0_11 Depth=1
	s_mul_i32 s23, s7, s22
	v_add_u32_e32 v13, s23, v20
	v_ashrrev_i32_e32 v14, 31, v13
	v_lshlrev_b64 v[13:14], 2, v[13:14]
	s_waitcnt lgkmcnt(0)
	v_mov_b32_e32 v15, s19
	v_add_co_u32_e32 v13, vcc, s18, v13
	v_addc_co_u32_e32 v14, vcc, v15, v14, vcc
	global_load_dword v13, v[13:14], off
	s_waitcnt vmcnt(0)
	ds_write_b32 v3, v13
.LBB0_28:                               ;   in Loop: Header=BB0_11 Depth=1
	s_or_b64 exec, exec, s[44:45]
	s_waitcnt lgkmcnt(0)
	; wave barrier
	s_and_saveexec_b64 s[44:45], s[8:9]
	s_cbranch_execz .LBB0_10
; %bb.29:                               ;   in Loop: Header=BB0_11 Depth=1
	s_and_saveexec_b64 s[46:47], s[20:21]
	s_cbranch_execz .LBB0_32
; %bb.30:                               ;   in Loop: Header=BB0_11 Depth=1
	v_mov_b32_e32 v13, v21
	v_mov_b32_e32 v14, v19
	s_mov_b32 s23, s35
.LBB0_31:                               ;   Parent Loop BB0_11 Depth=1
                                        ; =>  This Inner Loop Header: Depth=2
	ds_read_b32 v15, v13
	ds_read_b32 v16, v14
	s_add_i32 s23, s23, -1
	v_add_u32_e32 v14, 4, v14
	v_add_u32_e32 v13, 4, v13
	s_cmp_lg_u32 s23, 0
	s_waitcnt lgkmcnt(0)
	v_fma_f32 v18, v15, v16, v18
	s_cbranch_scc1 .LBB0_31
.LBB0_32:                               ;   in Loop: Header=BB0_11 Depth=1
	s_or_b64 exec, exec, s[46:47]
	s_and_saveexec_b64 s[46:47], s[42:43]
	s_cbranch_execz .LBB0_9
; %bb.33:                               ;   in Loop: Header=BB0_11 Depth=1
	v_mov_b32_e32 v13, v21
	s_mov_b32 s23, s35
	v_mov_b32_e32 v14, v22
.LBB0_34:                               ;   Parent Loop BB0_11 Depth=1
                                        ; =>  This Inner Loop Header: Depth=2
	ds_read_b32 v15, v13
	ds_read_b32 v16, v14
	s_add_i32 s23, s23, -1
	v_add_u32_e32 v14, 4, v14
	v_add_u32_e32 v13, 4, v13
	s_cmp_lg_u32 s23, 0
	s_waitcnt lgkmcnt(0)
	v_fma_f32 v1, v15, v16, v1
	s_cbranch_scc1 .LBB0_34
	s_branch .LBB0_9
.LBB0_35:
	v_mov_b32_e32 v18, 0
	v_mov_b32_e32 v1, v18
.LBB0_36:
	s_and_b64 s[8:9], s[28:29], s[8:9]
	s_and_saveexec_b64 s[10:11], s[8:9]
	s_cbranch_execz .LBB0_45
; %bb.37:
	s_mul_i32 s6, s34, s6
	v_add_u32_e32 v5, s6, v0
	s_load_dwordx2 s[4:5], s[4:5], 0x58
	v_ashrrev_i32_e32 v6, 31, v5
	v_lshlrev_b64 v[5:6], 2, v[5:6]
	v_mov_b32_e32 v3, s31
	v_add_co_u32_e32 v0, vcc, s30, v5
	v_cmp_neq_f32_e64 s[6:7], s14, 0
	v_addc_co_u32_e32 v3, vcc, v3, v6, vcc
	s_and_saveexec_b64 s[8:9], s[2:3]
	s_cbranch_execz .LBB0_41
; %bb.38:
	v_ashrrev_i32_e32 v5, 31, v4
	s_waitcnt lgkmcnt(0)
	v_mul_lo_u32 v6, s5, v4
	v_mul_lo_u32 v7, s4, v5
	s_and_b64 vcc, exec, s[6:7]
	v_mul_f32_e32 v5, s24, v18
	s_cbranch_vccz .LBB0_46
; %bb.39:
	v_mad_u64_u32 v[8:9], s[2:3], s4, v4, 0
	v_add3_u32 v9, v9, v7, v6
	v_lshlrev_b64 v[8:9], 2, v[8:9]
	v_add_co_u32_e32 v8, vcc, v0, v8
	v_addc_co_u32_e32 v9, vcc, v3, v9, vcc
	global_load_dword v10, v[8:9], off
	s_waitcnt vmcnt(0)
	v_fma_f32 v10, s14, v10, v5
	global_store_dword v[8:9], v10, off
	s_cbranch_execnz .LBB0_41
.LBB0_40:
	v_mad_u64_u32 v[8:9], s[2:3], s4, v4, 0
	v_add3_u32 v9, v9, v7, v6
	v_lshlrev_b64 v[6:7], 2, v[8:9]
	v_add_co_u32_e32 v6, vcc, v0, v6
	v_addc_co_u32_e32 v7, vcc, v3, v7, vcc
	global_store_dword v[6:7], v5, off
.LBB0_41:
	s_or_b64 exec, exec, s[8:9]
	s_and_b64 exec, exec, s[0:1]
	s_cbranch_execz .LBB0_45
; %bb.42:
	v_ashrrev_i32_e32 v5, 31, v2
	s_waitcnt lgkmcnt(0)
	v_mul_lo_u32 v4, s5, v2
	v_mul_lo_u32 v5, s4, v5
	s_andn2_b64 vcc, exec, s[6:7]
	v_mul_f32_e32 v1, s24, v1
	s_cbranch_vccnz .LBB0_47
; %bb.43:
	v_mad_u64_u32 v[6:7], s[0:1], s4, v2, 0
	v_add3_u32 v7, v7, v5, v4
	v_lshlrev_b64 v[6:7], 2, v[6:7]
	v_add_co_u32_e32 v6, vcc, v0, v6
	v_addc_co_u32_e32 v7, vcc, v3, v7, vcc
	global_load_dword v8, v[6:7], off
	s_waitcnt vmcnt(0)
	v_fma_f32 v8, s14, v8, v1
	global_store_dword v[6:7], v8, off
	s_cbranch_execnz .LBB0_45
.LBB0_44:
	v_mad_u64_u32 v[6:7], s[0:1], s4, v2, 0
	v_add3_u32 v7, v7, v5, v4
	v_lshlrev_b64 v[4:5], 2, v[6:7]
	v_add_co_u32_e32 v2, vcc, v0, v4
	v_addc_co_u32_e32 v3, vcc, v3, v5, vcc
	global_store_dword v[2:3], v1, off
.LBB0_45:
	s_endpgm
.LBB0_46:
	s_branch .LBB0_40
.LBB0_47:
	s_branch .LBB0_44
	.section	.rodata,"a",@progbits
	.p2align	6, 0x0
	.amdhsa_kernel _ZN9rocsparseL33gebsrmm_large_blockdim_kernel_extILi8ELi8ELi2EfEEv20rocsparse_direction_20rocsparse_operation_iiNS_24const_host_device_scalarIT2_EEPKiS7_PKS4_iiS9_lS5_PS4_l21rocsparse_index_base_b
		.amdhsa_group_segment_fixed_size 768
		.amdhsa_private_segment_fixed_size 0
		.amdhsa_kernarg_size 104
		.amdhsa_user_sgpr_count 6
		.amdhsa_user_sgpr_private_segment_buffer 1
		.amdhsa_user_sgpr_dispatch_ptr 0
		.amdhsa_user_sgpr_queue_ptr 0
		.amdhsa_user_sgpr_kernarg_segment_ptr 1
		.amdhsa_user_sgpr_dispatch_id 0
		.amdhsa_user_sgpr_flat_scratch_init 0
		.amdhsa_user_sgpr_private_segment_size 0
		.amdhsa_uses_dynamic_stack 0
		.amdhsa_system_sgpr_private_segment_wavefront_offset 0
		.amdhsa_system_sgpr_workgroup_id_x 1
		.amdhsa_system_sgpr_workgroup_id_y 1
		.amdhsa_system_sgpr_workgroup_id_z 0
		.amdhsa_system_sgpr_workgroup_info 0
		.amdhsa_system_vgpr_workitem_id 1
		.amdhsa_next_free_vgpr 25
		.amdhsa_next_free_sgpr 52
		.amdhsa_reserve_vcc 1
		.amdhsa_reserve_flat_scratch 0
		.amdhsa_float_round_mode_32 0
		.amdhsa_float_round_mode_16_64 0
		.amdhsa_float_denorm_mode_32 3
		.amdhsa_float_denorm_mode_16_64 3
		.amdhsa_dx10_clamp 1
		.amdhsa_ieee_mode 1
		.amdhsa_fp16_overflow 0
		.amdhsa_exception_fp_ieee_invalid_op 0
		.amdhsa_exception_fp_denorm_src 0
		.amdhsa_exception_fp_ieee_div_zero 0
		.amdhsa_exception_fp_ieee_overflow 0
		.amdhsa_exception_fp_ieee_underflow 0
		.amdhsa_exception_fp_ieee_inexact 0
		.amdhsa_exception_int_div_zero 0
	.end_amdhsa_kernel
	.section	.text._ZN9rocsparseL33gebsrmm_large_blockdim_kernel_extILi8ELi8ELi2EfEEv20rocsparse_direction_20rocsparse_operation_iiNS_24const_host_device_scalarIT2_EEPKiS7_PKS4_iiS9_lS5_PS4_l21rocsparse_index_base_b,"axG",@progbits,_ZN9rocsparseL33gebsrmm_large_blockdim_kernel_extILi8ELi8ELi2EfEEv20rocsparse_direction_20rocsparse_operation_iiNS_24const_host_device_scalarIT2_EEPKiS7_PKS4_iiS9_lS5_PS4_l21rocsparse_index_base_b,comdat
.Lfunc_end0:
	.size	_ZN9rocsparseL33gebsrmm_large_blockdim_kernel_extILi8ELi8ELi2EfEEv20rocsparse_direction_20rocsparse_operation_iiNS_24const_host_device_scalarIT2_EEPKiS7_PKS4_iiS9_lS5_PS4_l21rocsparse_index_base_b, .Lfunc_end0-_ZN9rocsparseL33gebsrmm_large_blockdim_kernel_extILi8ELi8ELi2EfEEv20rocsparse_direction_20rocsparse_operation_iiNS_24const_host_device_scalarIT2_EEPKiS7_PKS4_iiS9_lS5_PS4_l21rocsparse_index_base_b
                                        ; -- End function
	.set _ZN9rocsparseL33gebsrmm_large_blockdim_kernel_extILi8ELi8ELi2EfEEv20rocsparse_direction_20rocsparse_operation_iiNS_24const_host_device_scalarIT2_EEPKiS7_PKS4_iiS9_lS5_PS4_l21rocsparse_index_base_b.num_vgpr, 25
	.set _ZN9rocsparseL33gebsrmm_large_blockdim_kernel_extILi8ELi8ELi2EfEEv20rocsparse_direction_20rocsparse_operation_iiNS_24const_host_device_scalarIT2_EEPKiS7_PKS4_iiS9_lS5_PS4_l21rocsparse_index_base_b.num_agpr, 0
	.set _ZN9rocsparseL33gebsrmm_large_blockdim_kernel_extILi8ELi8ELi2EfEEv20rocsparse_direction_20rocsparse_operation_iiNS_24const_host_device_scalarIT2_EEPKiS7_PKS4_iiS9_lS5_PS4_l21rocsparse_index_base_b.numbered_sgpr, 52
	.set _ZN9rocsparseL33gebsrmm_large_blockdim_kernel_extILi8ELi8ELi2EfEEv20rocsparse_direction_20rocsparse_operation_iiNS_24const_host_device_scalarIT2_EEPKiS7_PKS4_iiS9_lS5_PS4_l21rocsparse_index_base_b.num_named_barrier, 0
	.set _ZN9rocsparseL33gebsrmm_large_blockdim_kernel_extILi8ELi8ELi2EfEEv20rocsparse_direction_20rocsparse_operation_iiNS_24const_host_device_scalarIT2_EEPKiS7_PKS4_iiS9_lS5_PS4_l21rocsparse_index_base_b.private_seg_size, 0
	.set _ZN9rocsparseL33gebsrmm_large_blockdim_kernel_extILi8ELi8ELi2EfEEv20rocsparse_direction_20rocsparse_operation_iiNS_24const_host_device_scalarIT2_EEPKiS7_PKS4_iiS9_lS5_PS4_l21rocsparse_index_base_b.uses_vcc, 1
	.set _ZN9rocsparseL33gebsrmm_large_blockdim_kernel_extILi8ELi8ELi2EfEEv20rocsparse_direction_20rocsparse_operation_iiNS_24const_host_device_scalarIT2_EEPKiS7_PKS4_iiS9_lS5_PS4_l21rocsparse_index_base_b.uses_flat_scratch, 0
	.set _ZN9rocsparseL33gebsrmm_large_blockdim_kernel_extILi8ELi8ELi2EfEEv20rocsparse_direction_20rocsparse_operation_iiNS_24const_host_device_scalarIT2_EEPKiS7_PKS4_iiS9_lS5_PS4_l21rocsparse_index_base_b.has_dyn_sized_stack, 0
	.set _ZN9rocsparseL33gebsrmm_large_blockdim_kernel_extILi8ELi8ELi2EfEEv20rocsparse_direction_20rocsparse_operation_iiNS_24const_host_device_scalarIT2_EEPKiS7_PKS4_iiS9_lS5_PS4_l21rocsparse_index_base_b.has_recursion, 0
	.set _ZN9rocsparseL33gebsrmm_large_blockdim_kernel_extILi8ELi8ELi2EfEEv20rocsparse_direction_20rocsparse_operation_iiNS_24const_host_device_scalarIT2_EEPKiS7_PKS4_iiS9_lS5_PS4_l21rocsparse_index_base_b.has_indirect_call, 0
	.section	.AMDGPU.csdata,"",@progbits
; Kernel info:
; codeLenInByte = 1468
; TotalNumSgprs: 56
; NumVgprs: 25
; ScratchSize: 0
; MemoryBound: 0
; FloatMode: 240
; IeeeMode: 1
; LDSByteSize: 768 bytes/workgroup (compile time only)
; SGPRBlocks: 6
; VGPRBlocks: 6
; NumSGPRsForWavesPerEU: 56
; NumVGPRsForWavesPerEU: 25
; Occupancy: 9
; WaveLimiterHint : 1
; COMPUTE_PGM_RSRC2:SCRATCH_EN: 0
; COMPUTE_PGM_RSRC2:USER_SGPR: 6
; COMPUTE_PGM_RSRC2:TRAP_HANDLER: 0
; COMPUTE_PGM_RSRC2:TGID_X_EN: 1
; COMPUTE_PGM_RSRC2:TGID_Y_EN: 1
; COMPUTE_PGM_RSRC2:TGID_Z_EN: 0
; COMPUTE_PGM_RSRC2:TIDIG_COMP_CNT: 1
	.section	.text._ZN9rocsparseL33gebsrmm_large_blockdim_kernel_extILi16ELi16ELi2EfEEv20rocsparse_direction_20rocsparse_operation_iiNS_24const_host_device_scalarIT2_EEPKiS7_PKS4_iiS9_lS5_PS4_l21rocsparse_index_base_b,"axG",@progbits,_ZN9rocsparseL33gebsrmm_large_blockdim_kernel_extILi16ELi16ELi2EfEEv20rocsparse_direction_20rocsparse_operation_iiNS_24const_host_device_scalarIT2_EEPKiS7_PKS4_iiS9_lS5_PS4_l21rocsparse_index_base_b,comdat
	.globl	_ZN9rocsparseL33gebsrmm_large_blockdim_kernel_extILi16ELi16ELi2EfEEv20rocsparse_direction_20rocsparse_operation_iiNS_24const_host_device_scalarIT2_EEPKiS7_PKS4_iiS9_lS5_PS4_l21rocsparse_index_base_b ; -- Begin function _ZN9rocsparseL33gebsrmm_large_blockdim_kernel_extILi16ELi16ELi2EfEEv20rocsparse_direction_20rocsparse_operation_iiNS_24const_host_device_scalarIT2_EEPKiS7_PKS4_iiS9_lS5_PS4_l21rocsparse_index_base_b
	.p2align	8
	.type	_ZN9rocsparseL33gebsrmm_large_blockdim_kernel_extILi16ELi16ELi2EfEEv20rocsparse_direction_20rocsparse_operation_iiNS_24const_host_device_scalarIT2_EEPKiS7_PKS4_iiS9_lS5_PS4_l21rocsparse_index_base_b,@function
_ZN9rocsparseL33gebsrmm_large_blockdim_kernel_extILi16ELi16ELi2EfEEv20rocsparse_direction_20rocsparse_operation_iiNS_24const_host_device_scalarIT2_EEPKiS7_PKS4_iiS9_lS5_PS4_l21rocsparse_index_base_b: ; @_ZN9rocsparseL33gebsrmm_large_blockdim_kernel_extILi16ELi16ELi2EfEEv20rocsparse_direction_20rocsparse_operation_iiNS_24const_host_device_scalarIT2_EEPKiS7_PKS4_iiS9_lS5_PS4_l21rocsparse_index_base_b
; %bb.0:
	s_load_dwordx2 s[26:27], s[4:5], 0x60
	s_load_dwordx2 s[24:25], s[4:5], 0x10
	s_load_dwordx4 s[16:19], s[4:5], 0x40
	s_waitcnt lgkmcnt(0)
	s_bitcmp1_b32 s27, 0
	s_cselect_b64 s[2:3], -1, 0
	s_xor_b64 s[0:1], s[2:3], -1
	s_and_b64 vcc, exec, s[2:3]
	s_cbranch_vccnz .LBB1_2
; %bb.1:
	s_load_dword s24, s[24:25], 0x0
.LBB1_2:
	s_andn2_b64 vcc, exec, s[0:1]
	s_cbranch_vccnz .LBB1_4
; %bb.3:
	s_load_dword s18, s[18:19], 0x0
.LBB1_4:
	s_waitcnt lgkmcnt(0)
	v_cmp_eq_f32_e64 s[0:1], s24, 0
	v_cmp_eq_f32_e64 s[2:3], s18, 1.0
	s_and_b64 s[0:1], s[0:1], s[2:3]
	s_mov_b32 s19, 0
	s_and_b64 vcc, exec, s[0:1]
	s_cbranch_vccnz .LBB1_45
; %bb.5:
	s_load_dwordx4 s[12:15], s[4:5], 0x0
	s_waitcnt lgkmcnt(0)
	s_cmp_lt_i32 s6, s14
	s_cselect_b64 s[28:29], -1, 0
	s_cmp_ge_i32 s6, s14
	s_mov_b32 s14, 0
	s_cbranch_scc1 .LBB1_7
; %bb.6:
	s_load_dwordx2 s[2:3], s[4:5], 0x18
	s_mov_b32 s0, s7
	s_ashr_i32 s7, s6, 31
	s_lshl_b64 s[8:9], s[6:7], 2
	s_mov_b32 s7, s0
	s_waitcnt lgkmcnt(0)
	s_add_u32 s0, s2, s8
	s_addc_u32 s1, s3, s9
	s_load_dwordx2 s[2:3], s[0:1], 0x0
	s_waitcnt lgkmcnt(0)
	s_sub_i32 s14, s2, s26
	s_sub_i32 s19, s3, s26
.LBB1_7:
	s_load_dwordx2 s[30:31], s[4:5], 0x50
	s_load_dwordx2 s[34:35], s[4:5], 0x30
	v_lshl_add_u32 v4, s7, 5, v1
	v_add_u32_e32 v2, 16, v4
	v_cmp_gt_i32_e64 s[2:3], s15, v4
	v_cmp_gt_i32_e64 s[0:1], s15, v2
	s_cmp_ge_i32 s14, s19
	s_waitcnt lgkmcnt(0)
	v_cmp_gt_i32_e64 s[8:9], s34, v0
	s_cbranch_scc1 .LBB1_35
; %bb.8:
	v_cmp_gt_i32_e32 vcc, s35, v1
	s_and_b64 s[38:39], s[8:9], vcc
	s_cmpk_lg_i32 s13, 0x6f
	s_cselect_b64 s[44:45], -1, 0
	s_cmp_eq_u32 s12, 0
	v_mad_u64_u32 v[6:7], s[12:13], s34, v1, v[0:1]
	v_ashrrev_i32_e32 v5, 31, v4
	v_mul_lo_u32 v11, s17, v4
	v_mul_lo_u32 v14, s16, v5
	v_mad_u64_u32 v[7:8], s[12:13], s16, v4, 0
	v_mov_b32_e32 v3, 0x800
	v_lshl_or_b32 v12, v1, 2, v3
	v_mad_u64_u32 v[9:10], s[12:13], s35, v0, v[1:2]
	v_ashrrev_i32_e32 v3, 31, v2
	v_lshlrev_b32_e32 v18, 6, v1
	v_add3_u32 v8, v8, v14, v11
	v_mul_lo_u32 v1, s17, v2
	v_mul_lo_u32 v14, s16, v3
	v_mad_u64_u32 v[10:11], s[12:13], s16, v2, 0
	s_load_dwordx4 s[20:23], s[4:5], 0x20
	s_load_dwordx2 s[36:37], s[4:5], 0x38
	s_cselect_b64 vcc, -1, 0
	s_cmp_gt_i32 s35, 0
	v_lshlrev_b32_e32 v15, 6, v0
	s_cselect_b64 s[12:13], -1, 0
	v_add3_u32 v11, v11, v14, v1
	v_cndmask_b32_e32 v19, v6, v9, vcc
	v_cndmask_b32_e64 v6, 0, 1, s[44:45]
	v_lshlrev_b32_e32 v13, 2, v0
	s_and_b64 s[40:41], s[2:3], s[12:13]
	s_and_b64 s[42:43], s[0:1], s[12:13]
	v_mov_b32_e32 v17, 0
	v_cmp_ne_u32_e64 s[12:13], 1, v6
	v_add_u32_e32 v22, v12, v15
	v_lshlrev_b64 v[5:6], 2, v[4:5]
	v_lshlrev_b64 v[7:8], 2, v[7:8]
	;; [unrolled: 1-line block ×4, first 2 shown]
	s_mul_i32 s7, s35, s34
	v_cmp_gt_i32_e64 s[10:11], s35, v0
	v_add_u32_e32 v20, 0x800, v15
	v_add_u32_e32 v21, 0x400, v18
	v_mov_b32_e32 v1, v17
	v_add_u32_e32 v3, v13, v18
	s_branch .LBB1_11
.LBB1_9:                                ;   in Loop: Header=BB1_11 Depth=1
	s_or_b64 exec, exec, s[46:47]
.LBB1_10:                               ;   in Loop: Header=BB1_11 Depth=1
	s_or_b64 exec, exec, s[44:45]
	s_add_i32 s14, s14, 1
	s_cmp_ge_i32 s14, s19
	s_barrier
	s_cbranch_scc1 .LBB1_36
.LBB1_11:                               ; =>This Loop Header: Depth=1
                                        ;     Child Loop BB1_31 Depth 2
                                        ;     Child Loop BB1_34 Depth 2
	s_and_saveexec_b64 s[44:45], s[10:11]
	s_cbranch_execz .LBB1_26
; %bb.12:                               ;   in Loop: Header=BB1_11 Depth=1
	s_ashr_i32 s15, s14, 31
	s_lshl_b64 s[46:47], s[14:15], 2
	s_waitcnt lgkmcnt(0)
	s_add_u32 s46, s20, s46
	s_addc_u32 s47, s21, s47
	s_load_dword s15, s[46:47], 0x0
	s_and_b64 vcc, exec, s[12:13]
	s_waitcnt lgkmcnt(0)
	s_sub_i32 s15, s15, s26
	s_mul_i32 s15, s15, s35
	v_add_u32_e32 v13, s15, v0
	v_ashrrev_i32_e32 v14, 31, v13
	s_cbranch_vccnz .LBB1_18
; %bb.13:                               ;   in Loop: Header=BB1_11 Depth=1
	v_mul_lo_u32 v23, s17, v13
	v_mul_lo_u32 v24, s16, v14
	v_mad_u64_u32 v[15:16], s[46:47], s16, v13, 0
	v_add3_u32 v16, v16, v24, v23
	v_lshlrev_b64 v[15:16], 2, v[15:16]
	v_mov_b32_e32 v24, s37
	v_add_co_u32_e32 v23, vcc, s36, v15
	v_addc_co_u32_e32 v24, vcc, v24, v16, vcc
	s_and_saveexec_b64 s[46:47], s[2:3]
	s_cbranch_execz .LBB1_15
; %bb.14:                               ;   in Loop: Header=BB1_11 Depth=1
	v_add_co_u32_e32 v15, vcc, v23, v5
	v_addc_co_u32_e32 v16, vcc, v24, v6, vcc
	global_load_dword v15, v[15:16], off
	s_waitcnt vmcnt(0)
	ds_write_b32 v3, v15
.LBB1_15:                               ;   in Loop: Header=BB1_11 Depth=1
	s_or_b64 exec, exec, s[46:47]
	s_mov_b64 s[48:49], 0
	s_mov_b64 s[46:47], 0
                                        ; implicit-def: $vgpr15_vgpr16
	s_and_saveexec_b64 s[50:51], s[0:1]
	s_xor_b64 s[50:51], exec, s[50:51]
; %bb.16:                               ;   in Loop: Header=BB1_11 Depth=1
	v_add_co_u32_e32 v15, vcc, v23, v11
	s_mov_b64 s[46:47], exec
	v_addc_co_u32_e32 v16, vcc, v24, v12, vcc
; %bb.17:                               ;   in Loop: Header=BB1_11 Depth=1
	s_or_b64 exec, exec, s[50:51]
	s_and_b64 vcc, exec, s[48:49]
	s_cbranch_vccnz .LBB1_19
	s_branch .LBB1_24
.LBB1_18:                               ;   in Loop: Header=BB1_11 Depth=1
	s_mov_b64 s[46:47], 0
                                        ; implicit-def: $vgpr15_vgpr16
	s_cbranch_execz .LBB1_24
.LBB1_19:                               ;   in Loop: Header=BB1_11 Depth=1
	v_lshlrev_b64 v[13:14], 2, v[13:14]
	v_mov_b32_e32 v15, s37
	v_add_co_u32_e32 v13, vcc, s36, v13
	v_addc_co_u32_e32 v14, vcc, v15, v14, vcc
	s_and_saveexec_b64 s[48:49], s[2:3]
	s_cbranch_execz .LBB1_21
; %bb.20:                               ;   in Loop: Header=BB1_11 Depth=1
	v_add_co_u32_e32 v15, vcc, v13, v7
	v_addc_co_u32_e32 v16, vcc, v14, v8, vcc
	global_load_dword v15, v[15:16], off
	s_waitcnt vmcnt(0)
	ds_write_b32 v3, v15
.LBB1_21:                               ;   in Loop: Header=BB1_11 Depth=1
	s_or_b64 exec, exec, s[48:49]
                                        ; implicit-def: $vgpr15_vgpr16
	s_and_saveexec_b64 s[48:49], s[0:1]
; %bb.22:                               ;   in Loop: Header=BB1_11 Depth=1
	v_add_co_u32_e32 v15, vcc, v13, v9
	v_addc_co_u32_e32 v16, vcc, v14, v10, vcc
	s_or_b64 s[46:47], s[46:47], exec
; %bb.23:                               ;   in Loop: Header=BB1_11 Depth=1
	s_or_b64 exec, exec, s[48:49]
.LBB1_24:                               ;   in Loop: Header=BB1_11 Depth=1
	s_and_b64 exec, exec, s[46:47]
	s_cbranch_execz .LBB1_26
; %bb.25:                               ;   in Loop: Header=BB1_11 Depth=1
	global_load_dword v13, v[15:16], off
	s_waitcnt vmcnt(0)
	ds_write_b32 v3, v13 offset:1024
.LBB1_26:                               ;   in Loop: Header=BB1_11 Depth=1
	s_or_b64 exec, exec, s[44:45]
	s_and_saveexec_b64 s[44:45], s[38:39]
	s_cbranch_execz .LBB1_28
; %bb.27:                               ;   in Loop: Header=BB1_11 Depth=1
	s_mul_i32 s15, s7, s14
	v_add_u32_e32 v13, s15, v19
	v_ashrrev_i32_e32 v14, 31, v13
	v_lshlrev_b64 v[13:14], 2, v[13:14]
	s_waitcnt lgkmcnt(0)
	v_mov_b32_e32 v15, s23
	v_add_co_u32_e32 v13, vcc, s22, v13
	v_addc_co_u32_e32 v14, vcc, v15, v14, vcc
	global_load_dword v13, v[13:14], off
	s_waitcnt vmcnt(0)
	ds_write_b32 v22, v13
.LBB1_28:                               ;   in Loop: Header=BB1_11 Depth=1
	s_or_b64 exec, exec, s[44:45]
	s_waitcnt lgkmcnt(0)
	s_barrier
	s_and_saveexec_b64 s[44:45], s[8:9]
	s_cbranch_execz .LBB1_10
; %bb.29:                               ;   in Loop: Header=BB1_11 Depth=1
	s_and_saveexec_b64 s[46:47], s[40:41]
	s_cbranch_execz .LBB1_32
; %bb.30:                               ;   in Loop: Header=BB1_11 Depth=1
	v_mov_b32_e32 v13, v20
	v_mov_b32_e32 v14, v18
	s_mov_b32 s15, s35
.LBB1_31:                               ;   Parent Loop BB1_11 Depth=1
                                        ; =>  This Inner Loop Header: Depth=2
	ds_read_b32 v15, v13
	ds_read_b32 v16, v14
	s_add_i32 s15, s15, -1
	v_add_u32_e32 v14, 4, v14
	v_add_u32_e32 v13, 4, v13
	s_cmp_lg_u32 s15, 0
	s_waitcnt lgkmcnt(0)
	v_fma_f32 v17, v15, v16, v17
	s_cbranch_scc1 .LBB1_31
.LBB1_32:                               ;   in Loop: Header=BB1_11 Depth=1
	s_or_b64 exec, exec, s[46:47]
	s_and_saveexec_b64 s[46:47], s[42:43]
	s_cbranch_execz .LBB1_9
; %bb.33:                               ;   in Loop: Header=BB1_11 Depth=1
	v_mov_b32_e32 v13, v20
	s_mov_b32 s15, s35
	v_mov_b32_e32 v14, v21
.LBB1_34:                               ;   Parent Loop BB1_11 Depth=1
                                        ; =>  This Inner Loop Header: Depth=2
	ds_read_b32 v15, v13
	ds_read_b32 v16, v14
	s_add_i32 s15, s15, -1
	v_add_u32_e32 v14, 4, v14
	v_add_u32_e32 v13, 4, v13
	s_cmp_lg_u32 s15, 0
	s_waitcnt lgkmcnt(0)
	v_fma_f32 v1, v15, v16, v1
	s_cbranch_scc1 .LBB1_34
	s_branch .LBB1_9
.LBB1_35:
	v_mov_b32_e32 v17, 0
	v_mov_b32_e32 v1, v17
.LBB1_36:
	s_and_b64 s[8:9], s[28:29], s[8:9]
	s_and_saveexec_b64 s[10:11], s[8:9]
	s_cbranch_execz .LBB1_45
; %bb.37:
	s_mul_i32 s6, s34, s6
	v_add_u32_e32 v5, s6, v0
	s_load_dwordx2 s[4:5], s[4:5], 0x58
	v_ashrrev_i32_e32 v6, 31, v5
	v_lshlrev_b64 v[5:6], 2, v[5:6]
	v_mov_b32_e32 v3, s31
	v_add_co_u32_e32 v0, vcc, s30, v5
	v_cmp_neq_f32_e64 s[6:7], s18, 0
	v_addc_co_u32_e32 v3, vcc, v3, v6, vcc
	s_and_saveexec_b64 s[8:9], s[2:3]
	s_cbranch_execz .LBB1_41
; %bb.38:
	v_ashrrev_i32_e32 v5, 31, v4
	s_waitcnt lgkmcnt(0)
	v_mul_lo_u32 v6, s5, v4
	v_mul_lo_u32 v7, s4, v5
	s_and_b64 vcc, exec, s[6:7]
	v_mul_f32_e32 v5, s24, v17
	s_cbranch_vccz .LBB1_46
; %bb.39:
	v_mad_u64_u32 v[8:9], s[2:3], s4, v4, 0
	v_add3_u32 v9, v9, v7, v6
	v_lshlrev_b64 v[8:9], 2, v[8:9]
	v_add_co_u32_e32 v8, vcc, v0, v8
	v_addc_co_u32_e32 v9, vcc, v3, v9, vcc
	global_load_dword v10, v[8:9], off
	s_waitcnt vmcnt(0)
	v_fma_f32 v10, s18, v10, v5
	global_store_dword v[8:9], v10, off
	s_cbranch_execnz .LBB1_41
.LBB1_40:
	v_mad_u64_u32 v[8:9], s[2:3], s4, v4, 0
	v_add3_u32 v9, v9, v7, v6
	v_lshlrev_b64 v[6:7], 2, v[8:9]
	v_add_co_u32_e32 v6, vcc, v0, v6
	v_addc_co_u32_e32 v7, vcc, v3, v7, vcc
	global_store_dword v[6:7], v5, off
.LBB1_41:
	s_or_b64 exec, exec, s[8:9]
	s_and_b64 exec, exec, s[0:1]
	s_cbranch_execz .LBB1_45
; %bb.42:
	v_ashrrev_i32_e32 v5, 31, v2
	s_waitcnt lgkmcnt(0)
	v_mul_lo_u32 v4, s5, v2
	v_mul_lo_u32 v5, s4, v5
	s_andn2_b64 vcc, exec, s[6:7]
	v_mul_f32_e32 v1, s24, v1
	s_cbranch_vccnz .LBB1_47
; %bb.43:
	v_mad_u64_u32 v[6:7], s[0:1], s4, v2, 0
	v_add3_u32 v7, v7, v5, v4
	v_lshlrev_b64 v[6:7], 2, v[6:7]
	v_add_co_u32_e32 v6, vcc, v0, v6
	v_addc_co_u32_e32 v7, vcc, v3, v7, vcc
	global_load_dword v8, v[6:7], off
	s_waitcnt vmcnt(0)
	v_fma_f32 v8, s18, v8, v1
	global_store_dword v[6:7], v8, off
	s_cbranch_execnz .LBB1_45
.LBB1_44:
	v_mad_u64_u32 v[6:7], s[0:1], s4, v2, 0
	v_add3_u32 v7, v7, v5, v4
	v_lshlrev_b64 v[4:5], 2, v[6:7]
	v_add_co_u32_e32 v2, vcc, v0, v4
	v_addc_co_u32_e32 v3, vcc, v3, v5, vcc
	global_store_dword v[2:3], v1, off
.LBB1_45:
	s_endpgm
.LBB1_46:
	s_branch .LBB1_40
.LBB1_47:
	s_branch .LBB1_44
	.section	.rodata,"a",@progbits
	.p2align	6, 0x0
	.amdhsa_kernel _ZN9rocsparseL33gebsrmm_large_blockdim_kernel_extILi16ELi16ELi2EfEEv20rocsparse_direction_20rocsparse_operation_iiNS_24const_host_device_scalarIT2_EEPKiS7_PKS4_iiS9_lS5_PS4_l21rocsparse_index_base_b
		.amdhsa_group_segment_fixed_size 3072
		.amdhsa_private_segment_fixed_size 0
		.amdhsa_kernarg_size 104
		.amdhsa_user_sgpr_count 6
		.amdhsa_user_sgpr_private_segment_buffer 1
		.amdhsa_user_sgpr_dispatch_ptr 0
		.amdhsa_user_sgpr_queue_ptr 0
		.amdhsa_user_sgpr_kernarg_segment_ptr 1
		.amdhsa_user_sgpr_dispatch_id 0
		.amdhsa_user_sgpr_flat_scratch_init 0
		.amdhsa_user_sgpr_private_segment_size 0
		.amdhsa_uses_dynamic_stack 0
		.amdhsa_system_sgpr_private_segment_wavefront_offset 0
		.amdhsa_system_sgpr_workgroup_id_x 1
		.amdhsa_system_sgpr_workgroup_id_y 1
		.amdhsa_system_sgpr_workgroup_id_z 0
		.amdhsa_system_sgpr_workgroup_info 0
		.amdhsa_system_vgpr_workitem_id 1
		.amdhsa_next_free_vgpr 25
		.amdhsa_next_free_sgpr 52
		.amdhsa_reserve_vcc 1
		.amdhsa_reserve_flat_scratch 0
		.amdhsa_float_round_mode_32 0
		.amdhsa_float_round_mode_16_64 0
		.amdhsa_float_denorm_mode_32 3
		.amdhsa_float_denorm_mode_16_64 3
		.amdhsa_dx10_clamp 1
		.amdhsa_ieee_mode 1
		.amdhsa_fp16_overflow 0
		.amdhsa_exception_fp_ieee_invalid_op 0
		.amdhsa_exception_fp_denorm_src 0
		.amdhsa_exception_fp_ieee_div_zero 0
		.amdhsa_exception_fp_ieee_overflow 0
		.amdhsa_exception_fp_ieee_underflow 0
		.amdhsa_exception_fp_ieee_inexact 0
		.amdhsa_exception_int_div_zero 0
	.end_amdhsa_kernel
	.section	.text._ZN9rocsparseL33gebsrmm_large_blockdim_kernel_extILi16ELi16ELi2EfEEv20rocsparse_direction_20rocsparse_operation_iiNS_24const_host_device_scalarIT2_EEPKiS7_PKS4_iiS9_lS5_PS4_l21rocsparse_index_base_b,"axG",@progbits,_ZN9rocsparseL33gebsrmm_large_blockdim_kernel_extILi16ELi16ELi2EfEEv20rocsparse_direction_20rocsparse_operation_iiNS_24const_host_device_scalarIT2_EEPKiS7_PKS4_iiS9_lS5_PS4_l21rocsparse_index_base_b,comdat
.Lfunc_end1:
	.size	_ZN9rocsparseL33gebsrmm_large_blockdim_kernel_extILi16ELi16ELi2EfEEv20rocsparse_direction_20rocsparse_operation_iiNS_24const_host_device_scalarIT2_EEPKiS7_PKS4_iiS9_lS5_PS4_l21rocsparse_index_base_b, .Lfunc_end1-_ZN9rocsparseL33gebsrmm_large_blockdim_kernel_extILi16ELi16ELi2EfEEv20rocsparse_direction_20rocsparse_operation_iiNS_24const_host_device_scalarIT2_EEPKiS7_PKS4_iiS9_lS5_PS4_l21rocsparse_index_base_b
                                        ; -- End function
	.set _ZN9rocsparseL33gebsrmm_large_blockdim_kernel_extILi16ELi16ELi2EfEEv20rocsparse_direction_20rocsparse_operation_iiNS_24const_host_device_scalarIT2_EEPKiS7_PKS4_iiS9_lS5_PS4_l21rocsparse_index_base_b.num_vgpr, 25
	.set _ZN9rocsparseL33gebsrmm_large_blockdim_kernel_extILi16ELi16ELi2EfEEv20rocsparse_direction_20rocsparse_operation_iiNS_24const_host_device_scalarIT2_EEPKiS7_PKS4_iiS9_lS5_PS4_l21rocsparse_index_base_b.num_agpr, 0
	.set _ZN9rocsparseL33gebsrmm_large_blockdim_kernel_extILi16ELi16ELi2EfEEv20rocsparse_direction_20rocsparse_operation_iiNS_24const_host_device_scalarIT2_EEPKiS7_PKS4_iiS9_lS5_PS4_l21rocsparse_index_base_b.numbered_sgpr, 52
	.set _ZN9rocsparseL33gebsrmm_large_blockdim_kernel_extILi16ELi16ELi2EfEEv20rocsparse_direction_20rocsparse_operation_iiNS_24const_host_device_scalarIT2_EEPKiS7_PKS4_iiS9_lS5_PS4_l21rocsparse_index_base_b.num_named_barrier, 0
	.set _ZN9rocsparseL33gebsrmm_large_blockdim_kernel_extILi16ELi16ELi2EfEEv20rocsparse_direction_20rocsparse_operation_iiNS_24const_host_device_scalarIT2_EEPKiS7_PKS4_iiS9_lS5_PS4_l21rocsparse_index_base_b.private_seg_size, 0
	.set _ZN9rocsparseL33gebsrmm_large_blockdim_kernel_extILi16ELi16ELi2EfEEv20rocsparse_direction_20rocsparse_operation_iiNS_24const_host_device_scalarIT2_EEPKiS7_PKS4_iiS9_lS5_PS4_l21rocsparse_index_base_b.uses_vcc, 1
	.set _ZN9rocsparseL33gebsrmm_large_blockdim_kernel_extILi16ELi16ELi2EfEEv20rocsparse_direction_20rocsparse_operation_iiNS_24const_host_device_scalarIT2_EEPKiS7_PKS4_iiS9_lS5_PS4_l21rocsparse_index_base_b.uses_flat_scratch, 0
	.set _ZN9rocsparseL33gebsrmm_large_blockdim_kernel_extILi16ELi16ELi2EfEEv20rocsparse_direction_20rocsparse_operation_iiNS_24const_host_device_scalarIT2_EEPKiS7_PKS4_iiS9_lS5_PS4_l21rocsparse_index_base_b.has_dyn_sized_stack, 0
	.set _ZN9rocsparseL33gebsrmm_large_blockdim_kernel_extILi16ELi16ELi2EfEEv20rocsparse_direction_20rocsparse_operation_iiNS_24const_host_device_scalarIT2_EEPKiS7_PKS4_iiS9_lS5_PS4_l21rocsparse_index_base_b.has_recursion, 0
	.set _ZN9rocsparseL33gebsrmm_large_blockdim_kernel_extILi16ELi16ELi2EfEEv20rocsparse_direction_20rocsparse_operation_iiNS_24const_host_device_scalarIT2_EEPKiS7_PKS4_iiS9_lS5_PS4_l21rocsparse_index_base_b.has_indirect_call, 0
	.section	.AMDGPU.csdata,"",@progbits
; Kernel info:
; codeLenInByte = 1484
; TotalNumSgprs: 56
; NumVgprs: 25
; ScratchSize: 0
; MemoryBound: 0
; FloatMode: 240
; IeeeMode: 1
; LDSByteSize: 3072 bytes/workgroup (compile time only)
; SGPRBlocks: 6
; VGPRBlocks: 6
; NumSGPRsForWavesPerEU: 56
; NumVGPRsForWavesPerEU: 25
; Occupancy: 9
; WaveLimiterHint : 1
; COMPUTE_PGM_RSRC2:SCRATCH_EN: 0
; COMPUTE_PGM_RSRC2:USER_SGPR: 6
; COMPUTE_PGM_RSRC2:TRAP_HANDLER: 0
; COMPUTE_PGM_RSRC2:TGID_X_EN: 1
; COMPUTE_PGM_RSRC2:TGID_Y_EN: 1
; COMPUTE_PGM_RSRC2:TGID_Z_EN: 0
; COMPUTE_PGM_RSRC2:TIDIG_COMP_CNT: 1
	.section	.text._ZN9rocsparseL33gebsrmm_large_blockdim_kernel_extILi32ELi32ELi2EfEEv20rocsparse_direction_20rocsparse_operation_iiNS_24const_host_device_scalarIT2_EEPKiS7_PKS4_iiS9_lS5_PS4_l21rocsparse_index_base_b,"axG",@progbits,_ZN9rocsparseL33gebsrmm_large_blockdim_kernel_extILi32ELi32ELi2EfEEv20rocsparse_direction_20rocsparse_operation_iiNS_24const_host_device_scalarIT2_EEPKiS7_PKS4_iiS9_lS5_PS4_l21rocsparse_index_base_b,comdat
	.globl	_ZN9rocsparseL33gebsrmm_large_blockdim_kernel_extILi32ELi32ELi2EfEEv20rocsparse_direction_20rocsparse_operation_iiNS_24const_host_device_scalarIT2_EEPKiS7_PKS4_iiS9_lS5_PS4_l21rocsparse_index_base_b ; -- Begin function _ZN9rocsparseL33gebsrmm_large_blockdim_kernel_extILi32ELi32ELi2EfEEv20rocsparse_direction_20rocsparse_operation_iiNS_24const_host_device_scalarIT2_EEPKiS7_PKS4_iiS9_lS5_PS4_l21rocsparse_index_base_b
	.p2align	8
	.type	_ZN9rocsparseL33gebsrmm_large_blockdim_kernel_extILi32ELi32ELi2EfEEv20rocsparse_direction_20rocsparse_operation_iiNS_24const_host_device_scalarIT2_EEPKiS7_PKS4_iiS9_lS5_PS4_l21rocsparse_index_base_b,@function
_ZN9rocsparseL33gebsrmm_large_blockdim_kernel_extILi32ELi32ELi2EfEEv20rocsparse_direction_20rocsparse_operation_iiNS_24const_host_device_scalarIT2_EEPKiS7_PKS4_iiS9_lS5_PS4_l21rocsparse_index_base_b: ; @_ZN9rocsparseL33gebsrmm_large_blockdim_kernel_extILi32ELi32ELi2EfEEv20rocsparse_direction_20rocsparse_operation_iiNS_24const_host_device_scalarIT2_EEPKiS7_PKS4_iiS9_lS5_PS4_l21rocsparse_index_base_b
; %bb.0:
	s_load_dwordx2 s[26:27], s[4:5], 0x60
	s_load_dwordx2 s[24:25], s[4:5], 0x10
	s_load_dwordx4 s[16:19], s[4:5], 0x40
	s_waitcnt lgkmcnt(0)
	s_bitcmp1_b32 s27, 0
	s_cselect_b64 s[2:3], -1, 0
	s_xor_b64 s[0:1], s[2:3], -1
	s_and_b64 vcc, exec, s[2:3]
	s_cbranch_vccnz .LBB2_2
; %bb.1:
	s_load_dword s24, s[24:25], 0x0
.LBB2_2:
	s_andn2_b64 vcc, exec, s[0:1]
	s_cbranch_vccnz .LBB2_4
; %bb.3:
	s_load_dword s18, s[18:19], 0x0
.LBB2_4:
	s_waitcnt lgkmcnt(0)
	v_cmp_eq_f32_e64 s[0:1], s24, 0
	v_cmp_eq_f32_e64 s[2:3], s18, 1.0
	s_and_b64 s[0:1], s[0:1], s[2:3]
	s_mov_b32 s19, 0
	s_and_b64 vcc, exec, s[0:1]
	s_cbranch_vccnz .LBB2_45
; %bb.5:
	s_load_dwordx4 s[12:15], s[4:5], 0x0
	s_waitcnt lgkmcnt(0)
	s_cmp_lt_i32 s6, s14
	s_cselect_b64 s[28:29], -1, 0
	s_cmp_ge_i32 s6, s14
	s_mov_b32 s14, 0
	s_cbranch_scc1 .LBB2_7
; %bb.6:
	s_load_dwordx2 s[2:3], s[4:5], 0x18
	s_mov_b32 s0, s7
	s_ashr_i32 s7, s6, 31
	s_lshl_b64 s[8:9], s[6:7], 2
	s_mov_b32 s7, s0
	s_waitcnt lgkmcnt(0)
	s_add_u32 s0, s2, s8
	s_addc_u32 s1, s3, s9
	s_load_dwordx2 s[2:3], s[0:1], 0x0
	s_waitcnt lgkmcnt(0)
	s_sub_i32 s14, s2, s26
	s_sub_i32 s19, s3, s26
.LBB2_7:
	s_load_dwordx2 s[30:31], s[4:5], 0x50
	s_load_dwordx2 s[34:35], s[4:5], 0x30
	v_lshl_add_u32 v4, s7, 6, v1
	v_add_u32_e32 v2, 32, v4
	v_cmp_gt_i32_e64 s[2:3], s15, v4
	v_cmp_gt_i32_e64 s[0:1], s15, v2
	s_cmp_ge_i32 s14, s19
	s_waitcnt lgkmcnt(0)
	v_cmp_gt_i32_e64 s[8:9], s34, v0
	s_cbranch_scc1 .LBB2_35
; %bb.8:
	v_cmp_gt_i32_e32 vcc, s35, v1
	s_and_b64 s[38:39], s[8:9], vcc
	s_cmpk_lg_i32 s13, 0x6f
	v_mov_b32_e32 v3, 0x2000
	s_cselect_b64 s[44:45], -1, 0
	s_cmp_eq_u32 s12, 0
	v_mad_u64_u32 v[6:7], s[12:13], s34, v1, v[0:1]
	v_lshl_or_b32 v13, v1, 2, v3
	v_mad_u64_u32 v[7:8], s[12:13], s35, v0, v[1:2]
	v_ashrrev_i32_e32 v5, 31, v4
	v_ashrrev_i32_e32 v3, 31, v2
	v_lshlrev_b32_e32 v18, 7, v1
	v_mul_lo_u32 v1, s17, v4
	v_mul_lo_u32 v8, s16, v5
	v_mad_u64_u32 v[9:10], s[12:13], s16, v4, 0
	v_mul_lo_u32 v16, s17, v2
	v_mul_lo_u32 v17, s16, v3
	v_mad_u64_u32 v[11:12], s[12:13], s16, v2, 0
	s_load_dwordx4 s[20:23], s[4:5], 0x20
	s_load_dwordx2 s[36:37], s[4:5], 0x38
	s_cselect_b64 vcc, -1, 0
	s_cmp_gt_i32 s35, 0
	s_cselect_b64 s[12:13], -1, 0
	v_add3_u32 v10, v10, v8, v1
	v_add3_u32 v12, v12, v17, v16
	v_cndmask_b32_e32 v19, v6, v7, vcc
	v_cndmask_b32_e64 v6, 0, 1, s[44:45]
	v_lshlrev_b32_e32 v14, 2, v0
	v_lshlrev_b32_e32 v15, 7, v0
	s_and_b64 s[40:41], s[2:3], s[12:13]
	s_and_b64 s[42:43], s[0:1], s[12:13]
	v_mov_b32_e32 v17, 0
	v_cmp_ne_u32_e64 s[12:13], 1, v6
	v_lshlrev_b64 v[5:6], 2, v[4:5]
	v_lshlrev_b64 v[7:8], 2, v[2:3]
	;; [unrolled: 1-line block ×4, first 2 shown]
	s_mul_i32 s7, s35, s34
	v_cmp_gt_i32_e64 s[10:11], s35, v0
	v_add_u32_e32 v20, 0x2000, v15
	v_add_u32_e32 v21, 0x1000, v18
	v_mov_b32_e32 v1, v17
	v_add_u32_e32 v22, v14, v18
	v_add_u32_e32 v3, v13, v15
	s_branch .LBB2_11
.LBB2_9:                                ;   in Loop: Header=BB2_11 Depth=1
	s_or_b64 exec, exec, s[46:47]
.LBB2_10:                               ;   in Loop: Header=BB2_11 Depth=1
	s_or_b64 exec, exec, s[44:45]
	s_add_i32 s14, s14, 1
	s_cmp_ge_i32 s14, s19
	s_barrier
	s_cbranch_scc1 .LBB2_36
.LBB2_11:                               ; =>This Loop Header: Depth=1
                                        ;     Child Loop BB2_31 Depth 2
                                        ;     Child Loop BB2_34 Depth 2
	s_and_saveexec_b64 s[44:45], s[10:11]
	s_cbranch_execz .LBB2_26
; %bb.12:                               ;   in Loop: Header=BB2_11 Depth=1
	s_ashr_i32 s15, s14, 31
	s_lshl_b64 s[46:47], s[14:15], 2
	s_waitcnt lgkmcnt(0)
	s_add_u32 s46, s20, s46
	s_addc_u32 s47, s21, s47
	s_load_dword s15, s[46:47], 0x0
	s_and_b64 vcc, exec, s[12:13]
	s_waitcnt lgkmcnt(0)
	s_sub_i32 s15, s15, s26
	s_mul_i32 s15, s15, s35
	v_add_u32_e32 v13, s15, v0
	v_ashrrev_i32_e32 v14, 31, v13
	s_cbranch_vccnz .LBB2_18
; %bb.13:                               ;   in Loop: Header=BB2_11 Depth=1
	v_mul_lo_u32 v23, s17, v13
	v_mul_lo_u32 v24, s16, v14
	v_mad_u64_u32 v[15:16], s[46:47], s16, v13, 0
	v_add3_u32 v16, v16, v24, v23
	v_lshlrev_b64 v[15:16], 2, v[15:16]
	v_mov_b32_e32 v24, s37
	v_add_co_u32_e32 v23, vcc, s36, v15
	v_addc_co_u32_e32 v24, vcc, v24, v16, vcc
	s_and_saveexec_b64 s[46:47], s[2:3]
	s_cbranch_execz .LBB2_15
; %bb.14:                               ;   in Loop: Header=BB2_11 Depth=1
	v_add_co_u32_e32 v15, vcc, v23, v5
	v_addc_co_u32_e32 v16, vcc, v24, v6, vcc
	global_load_dword v15, v[15:16], off
	s_waitcnt vmcnt(0)
	ds_write_b32 v22, v15
.LBB2_15:                               ;   in Loop: Header=BB2_11 Depth=1
	s_or_b64 exec, exec, s[46:47]
	s_mov_b64 s[48:49], 0
	s_mov_b64 s[46:47], 0
                                        ; implicit-def: $vgpr15_vgpr16
	s_and_saveexec_b64 s[50:51], s[0:1]
	s_xor_b64 s[50:51], exec, s[50:51]
; %bb.16:                               ;   in Loop: Header=BB2_11 Depth=1
	v_add_co_u32_e32 v15, vcc, v23, v7
	s_mov_b64 s[46:47], exec
	v_addc_co_u32_e32 v16, vcc, v24, v8, vcc
; %bb.17:                               ;   in Loop: Header=BB2_11 Depth=1
	s_or_b64 exec, exec, s[50:51]
	s_and_b64 vcc, exec, s[48:49]
	s_cbranch_vccnz .LBB2_19
	s_branch .LBB2_24
.LBB2_18:                               ;   in Loop: Header=BB2_11 Depth=1
	s_mov_b64 s[46:47], 0
                                        ; implicit-def: $vgpr15_vgpr16
	s_cbranch_execz .LBB2_24
.LBB2_19:                               ;   in Loop: Header=BB2_11 Depth=1
	v_lshlrev_b64 v[13:14], 2, v[13:14]
	v_mov_b32_e32 v15, s37
	v_add_co_u32_e32 v13, vcc, s36, v13
	v_addc_co_u32_e32 v14, vcc, v15, v14, vcc
	s_and_saveexec_b64 s[48:49], s[2:3]
	s_cbranch_execz .LBB2_21
; %bb.20:                               ;   in Loop: Header=BB2_11 Depth=1
	v_add_co_u32_e32 v15, vcc, v13, v9
	v_addc_co_u32_e32 v16, vcc, v14, v10, vcc
	global_load_dword v15, v[15:16], off
	s_waitcnt vmcnt(0)
	ds_write_b32 v22, v15
.LBB2_21:                               ;   in Loop: Header=BB2_11 Depth=1
	s_or_b64 exec, exec, s[48:49]
                                        ; implicit-def: $vgpr15_vgpr16
	s_and_saveexec_b64 s[48:49], s[0:1]
; %bb.22:                               ;   in Loop: Header=BB2_11 Depth=1
	v_add_co_u32_e32 v15, vcc, v13, v11
	v_addc_co_u32_e32 v16, vcc, v14, v12, vcc
	s_or_b64 s[46:47], s[46:47], exec
; %bb.23:                               ;   in Loop: Header=BB2_11 Depth=1
	s_or_b64 exec, exec, s[48:49]
.LBB2_24:                               ;   in Loop: Header=BB2_11 Depth=1
	s_and_b64 exec, exec, s[46:47]
	s_cbranch_execz .LBB2_26
; %bb.25:                               ;   in Loop: Header=BB2_11 Depth=1
	global_load_dword v13, v[15:16], off
	s_waitcnt vmcnt(0)
	ds_write_b32 v22, v13 offset:4096
.LBB2_26:                               ;   in Loop: Header=BB2_11 Depth=1
	s_or_b64 exec, exec, s[44:45]
	s_and_saveexec_b64 s[44:45], s[38:39]
	s_cbranch_execz .LBB2_28
; %bb.27:                               ;   in Loop: Header=BB2_11 Depth=1
	s_mul_i32 s15, s7, s14
	v_add_u32_e32 v13, s15, v19
	v_ashrrev_i32_e32 v14, 31, v13
	v_lshlrev_b64 v[13:14], 2, v[13:14]
	s_waitcnt lgkmcnt(0)
	v_mov_b32_e32 v15, s23
	v_add_co_u32_e32 v13, vcc, s22, v13
	v_addc_co_u32_e32 v14, vcc, v15, v14, vcc
	global_load_dword v13, v[13:14], off
	s_waitcnt vmcnt(0)
	ds_write_b32 v3, v13
.LBB2_28:                               ;   in Loop: Header=BB2_11 Depth=1
	s_or_b64 exec, exec, s[44:45]
	s_waitcnt lgkmcnt(0)
	s_barrier
	s_and_saveexec_b64 s[44:45], s[8:9]
	s_cbranch_execz .LBB2_10
; %bb.29:                               ;   in Loop: Header=BB2_11 Depth=1
	s_and_saveexec_b64 s[46:47], s[40:41]
	s_cbranch_execz .LBB2_32
; %bb.30:                               ;   in Loop: Header=BB2_11 Depth=1
	v_mov_b32_e32 v13, v20
	v_mov_b32_e32 v14, v18
	s_mov_b32 s15, s35
.LBB2_31:                               ;   Parent Loop BB2_11 Depth=1
                                        ; =>  This Inner Loop Header: Depth=2
	ds_read_b32 v15, v13
	ds_read_b32 v16, v14
	s_add_i32 s15, s15, -1
	v_add_u32_e32 v14, 4, v14
	v_add_u32_e32 v13, 4, v13
	s_cmp_lg_u32 s15, 0
	s_waitcnt lgkmcnt(0)
	v_fma_f32 v17, v15, v16, v17
	s_cbranch_scc1 .LBB2_31
.LBB2_32:                               ;   in Loop: Header=BB2_11 Depth=1
	s_or_b64 exec, exec, s[46:47]
	s_and_saveexec_b64 s[46:47], s[42:43]
	s_cbranch_execz .LBB2_9
; %bb.33:                               ;   in Loop: Header=BB2_11 Depth=1
	v_mov_b32_e32 v13, v20
	s_mov_b32 s15, s35
	v_mov_b32_e32 v14, v21
.LBB2_34:                               ;   Parent Loop BB2_11 Depth=1
                                        ; =>  This Inner Loop Header: Depth=2
	ds_read_b32 v15, v13
	ds_read_b32 v16, v14
	s_add_i32 s15, s15, -1
	v_add_u32_e32 v14, 4, v14
	v_add_u32_e32 v13, 4, v13
	s_cmp_lg_u32 s15, 0
	s_waitcnt lgkmcnt(0)
	v_fma_f32 v1, v15, v16, v1
	s_cbranch_scc1 .LBB2_34
	s_branch .LBB2_9
.LBB2_35:
	v_mov_b32_e32 v17, 0
	v_mov_b32_e32 v1, v17
.LBB2_36:
	s_and_b64 s[8:9], s[28:29], s[8:9]
	s_and_saveexec_b64 s[10:11], s[8:9]
	s_cbranch_execz .LBB2_45
; %bb.37:
	s_mul_i32 s6, s34, s6
	v_add_u32_e32 v5, s6, v0
	s_load_dwordx2 s[4:5], s[4:5], 0x58
	v_ashrrev_i32_e32 v6, 31, v5
	v_lshlrev_b64 v[5:6], 2, v[5:6]
	v_mov_b32_e32 v3, s31
	v_add_co_u32_e32 v0, vcc, s30, v5
	v_cmp_neq_f32_e64 s[6:7], s18, 0
	v_addc_co_u32_e32 v3, vcc, v3, v6, vcc
	s_and_saveexec_b64 s[8:9], s[2:3]
	s_cbranch_execz .LBB2_41
; %bb.38:
	v_ashrrev_i32_e32 v5, 31, v4
	s_waitcnt lgkmcnt(0)
	v_mul_lo_u32 v6, s5, v4
	v_mul_lo_u32 v7, s4, v5
	s_and_b64 vcc, exec, s[6:7]
	v_mul_f32_e32 v5, s24, v17
	s_cbranch_vccz .LBB2_46
; %bb.39:
	v_mad_u64_u32 v[8:9], s[2:3], s4, v4, 0
	v_add3_u32 v9, v9, v7, v6
	v_lshlrev_b64 v[8:9], 2, v[8:9]
	v_add_co_u32_e32 v8, vcc, v0, v8
	v_addc_co_u32_e32 v9, vcc, v3, v9, vcc
	global_load_dword v10, v[8:9], off
	s_waitcnt vmcnt(0)
	v_fma_f32 v10, s18, v10, v5
	global_store_dword v[8:9], v10, off
	s_cbranch_execnz .LBB2_41
.LBB2_40:
	v_mad_u64_u32 v[8:9], s[2:3], s4, v4, 0
	v_add3_u32 v9, v9, v7, v6
	v_lshlrev_b64 v[6:7], 2, v[8:9]
	v_add_co_u32_e32 v6, vcc, v0, v6
	v_addc_co_u32_e32 v7, vcc, v3, v7, vcc
	global_store_dword v[6:7], v5, off
.LBB2_41:
	s_or_b64 exec, exec, s[8:9]
	s_and_b64 exec, exec, s[0:1]
	s_cbranch_execz .LBB2_45
; %bb.42:
	v_ashrrev_i32_e32 v5, 31, v2
	s_waitcnt lgkmcnt(0)
	v_mul_lo_u32 v4, s5, v2
	v_mul_lo_u32 v5, s4, v5
	s_andn2_b64 vcc, exec, s[6:7]
	v_mul_f32_e32 v1, s24, v1
	s_cbranch_vccnz .LBB2_47
; %bb.43:
	v_mad_u64_u32 v[6:7], s[0:1], s4, v2, 0
	v_add3_u32 v7, v7, v5, v4
	v_lshlrev_b64 v[6:7], 2, v[6:7]
	v_add_co_u32_e32 v6, vcc, v0, v6
	v_addc_co_u32_e32 v7, vcc, v3, v7, vcc
	global_load_dword v8, v[6:7], off
	s_waitcnt vmcnt(0)
	v_fma_f32 v8, s18, v8, v1
	global_store_dword v[6:7], v8, off
	s_cbranch_execnz .LBB2_45
.LBB2_44:
	v_mad_u64_u32 v[6:7], s[0:1], s4, v2, 0
	v_add3_u32 v7, v7, v5, v4
	v_lshlrev_b64 v[4:5], 2, v[6:7]
	v_add_co_u32_e32 v2, vcc, v0, v4
	v_addc_co_u32_e32 v3, vcc, v3, v5, vcc
	global_store_dword v[2:3], v1, off
.LBB2_45:
	s_endpgm
.LBB2_46:
	s_branch .LBB2_40
.LBB2_47:
	s_branch .LBB2_44
	.section	.rodata,"a",@progbits
	.p2align	6, 0x0
	.amdhsa_kernel _ZN9rocsparseL33gebsrmm_large_blockdim_kernel_extILi32ELi32ELi2EfEEv20rocsparse_direction_20rocsparse_operation_iiNS_24const_host_device_scalarIT2_EEPKiS7_PKS4_iiS9_lS5_PS4_l21rocsparse_index_base_b
		.amdhsa_group_segment_fixed_size 12288
		.amdhsa_private_segment_fixed_size 0
		.amdhsa_kernarg_size 104
		.amdhsa_user_sgpr_count 6
		.amdhsa_user_sgpr_private_segment_buffer 1
		.amdhsa_user_sgpr_dispatch_ptr 0
		.amdhsa_user_sgpr_queue_ptr 0
		.amdhsa_user_sgpr_kernarg_segment_ptr 1
		.amdhsa_user_sgpr_dispatch_id 0
		.amdhsa_user_sgpr_flat_scratch_init 0
		.amdhsa_user_sgpr_private_segment_size 0
		.amdhsa_uses_dynamic_stack 0
		.amdhsa_system_sgpr_private_segment_wavefront_offset 0
		.amdhsa_system_sgpr_workgroup_id_x 1
		.amdhsa_system_sgpr_workgroup_id_y 1
		.amdhsa_system_sgpr_workgroup_id_z 0
		.amdhsa_system_sgpr_workgroup_info 0
		.amdhsa_system_vgpr_workitem_id 1
		.amdhsa_next_free_vgpr 29
		.amdhsa_next_free_sgpr 61
		.amdhsa_reserve_vcc 1
		.amdhsa_reserve_flat_scratch 0
		.amdhsa_float_round_mode_32 0
		.amdhsa_float_round_mode_16_64 0
		.amdhsa_float_denorm_mode_32 3
		.amdhsa_float_denorm_mode_16_64 3
		.amdhsa_dx10_clamp 1
		.amdhsa_ieee_mode 1
		.amdhsa_fp16_overflow 0
		.amdhsa_exception_fp_ieee_invalid_op 0
		.amdhsa_exception_fp_denorm_src 0
		.amdhsa_exception_fp_ieee_div_zero 0
		.amdhsa_exception_fp_ieee_overflow 0
		.amdhsa_exception_fp_ieee_underflow 0
		.amdhsa_exception_fp_ieee_inexact 0
		.amdhsa_exception_int_div_zero 0
	.end_amdhsa_kernel
	.section	.text._ZN9rocsparseL33gebsrmm_large_blockdim_kernel_extILi32ELi32ELi2EfEEv20rocsparse_direction_20rocsparse_operation_iiNS_24const_host_device_scalarIT2_EEPKiS7_PKS4_iiS9_lS5_PS4_l21rocsparse_index_base_b,"axG",@progbits,_ZN9rocsparseL33gebsrmm_large_blockdim_kernel_extILi32ELi32ELi2EfEEv20rocsparse_direction_20rocsparse_operation_iiNS_24const_host_device_scalarIT2_EEPKiS7_PKS4_iiS9_lS5_PS4_l21rocsparse_index_base_b,comdat
.Lfunc_end2:
	.size	_ZN9rocsparseL33gebsrmm_large_blockdim_kernel_extILi32ELi32ELi2EfEEv20rocsparse_direction_20rocsparse_operation_iiNS_24const_host_device_scalarIT2_EEPKiS7_PKS4_iiS9_lS5_PS4_l21rocsparse_index_base_b, .Lfunc_end2-_ZN9rocsparseL33gebsrmm_large_blockdim_kernel_extILi32ELi32ELi2EfEEv20rocsparse_direction_20rocsparse_operation_iiNS_24const_host_device_scalarIT2_EEPKiS7_PKS4_iiS9_lS5_PS4_l21rocsparse_index_base_b
                                        ; -- End function
	.set _ZN9rocsparseL33gebsrmm_large_blockdim_kernel_extILi32ELi32ELi2EfEEv20rocsparse_direction_20rocsparse_operation_iiNS_24const_host_device_scalarIT2_EEPKiS7_PKS4_iiS9_lS5_PS4_l21rocsparse_index_base_b.num_vgpr, 25
	.set _ZN9rocsparseL33gebsrmm_large_blockdim_kernel_extILi32ELi32ELi2EfEEv20rocsparse_direction_20rocsparse_operation_iiNS_24const_host_device_scalarIT2_EEPKiS7_PKS4_iiS9_lS5_PS4_l21rocsparse_index_base_b.num_agpr, 0
	.set _ZN9rocsparseL33gebsrmm_large_blockdim_kernel_extILi32ELi32ELi2EfEEv20rocsparse_direction_20rocsparse_operation_iiNS_24const_host_device_scalarIT2_EEPKiS7_PKS4_iiS9_lS5_PS4_l21rocsparse_index_base_b.numbered_sgpr, 52
	.set _ZN9rocsparseL33gebsrmm_large_blockdim_kernel_extILi32ELi32ELi2EfEEv20rocsparse_direction_20rocsparse_operation_iiNS_24const_host_device_scalarIT2_EEPKiS7_PKS4_iiS9_lS5_PS4_l21rocsparse_index_base_b.num_named_barrier, 0
	.set _ZN9rocsparseL33gebsrmm_large_blockdim_kernel_extILi32ELi32ELi2EfEEv20rocsparse_direction_20rocsparse_operation_iiNS_24const_host_device_scalarIT2_EEPKiS7_PKS4_iiS9_lS5_PS4_l21rocsparse_index_base_b.private_seg_size, 0
	.set _ZN9rocsparseL33gebsrmm_large_blockdim_kernel_extILi32ELi32ELi2EfEEv20rocsparse_direction_20rocsparse_operation_iiNS_24const_host_device_scalarIT2_EEPKiS7_PKS4_iiS9_lS5_PS4_l21rocsparse_index_base_b.uses_vcc, 1
	.set _ZN9rocsparseL33gebsrmm_large_blockdim_kernel_extILi32ELi32ELi2EfEEv20rocsparse_direction_20rocsparse_operation_iiNS_24const_host_device_scalarIT2_EEPKiS7_PKS4_iiS9_lS5_PS4_l21rocsparse_index_base_b.uses_flat_scratch, 0
	.set _ZN9rocsparseL33gebsrmm_large_blockdim_kernel_extILi32ELi32ELi2EfEEv20rocsparse_direction_20rocsparse_operation_iiNS_24const_host_device_scalarIT2_EEPKiS7_PKS4_iiS9_lS5_PS4_l21rocsparse_index_base_b.has_dyn_sized_stack, 0
	.set _ZN9rocsparseL33gebsrmm_large_blockdim_kernel_extILi32ELi32ELi2EfEEv20rocsparse_direction_20rocsparse_operation_iiNS_24const_host_device_scalarIT2_EEPKiS7_PKS4_iiS9_lS5_PS4_l21rocsparse_index_base_b.has_recursion, 0
	.set _ZN9rocsparseL33gebsrmm_large_blockdim_kernel_extILi32ELi32ELi2EfEEv20rocsparse_direction_20rocsparse_operation_iiNS_24const_host_device_scalarIT2_EEPKiS7_PKS4_iiS9_lS5_PS4_l21rocsparse_index_base_b.has_indirect_call, 0
	.section	.AMDGPU.csdata,"",@progbits
; Kernel info:
; codeLenInByte = 1484
; TotalNumSgprs: 56
; NumVgprs: 25
; ScratchSize: 0
; MemoryBound: 0
; FloatMode: 240
; IeeeMode: 1
; LDSByteSize: 12288 bytes/workgroup (compile time only)
; SGPRBlocks: 8
; VGPRBlocks: 7
; NumSGPRsForWavesPerEU: 65
; NumVGPRsForWavesPerEU: 29
; Occupancy: 8
; WaveLimiterHint : 1
; COMPUTE_PGM_RSRC2:SCRATCH_EN: 0
; COMPUTE_PGM_RSRC2:USER_SGPR: 6
; COMPUTE_PGM_RSRC2:TRAP_HANDLER: 0
; COMPUTE_PGM_RSRC2:TGID_X_EN: 1
; COMPUTE_PGM_RSRC2:TGID_Y_EN: 1
; COMPUTE_PGM_RSRC2:TGID_Z_EN: 0
; COMPUTE_PGM_RSRC2:TIDIG_COMP_CNT: 1
	.section	.text._ZN9rocsparseL33gebsrmm_large_blockdim_kernel_extILi8ELi8ELi2EdEEv20rocsparse_direction_20rocsparse_operation_iiNS_24const_host_device_scalarIT2_EEPKiS7_PKS4_iiS9_lS5_PS4_l21rocsparse_index_base_b,"axG",@progbits,_ZN9rocsparseL33gebsrmm_large_blockdim_kernel_extILi8ELi8ELi2EdEEv20rocsparse_direction_20rocsparse_operation_iiNS_24const_host_device_scalarIT2_EEPKiS7_PKS4_iiS9_lS5_PS4_l21rocsparse_index_base_b,comdat
	.globl	_ZN9rocsparseL33gebsrmm_large_blockdim_kernel_extILi8ELi8ELi2EdEEv20rocsparse_direction_20rocsparse_operation_iiNS_24const_host_device_scalarIT2_EEPKiS7_PKS4_iiS9_lS5_PS4_l21rocsparse_index_base_b ; -- Begin function _ZN9rocsparseL33gebsrmm_large_blockdim_kernel_extILi8ELi8ELi2EdEEv20rocsparse_direction_20rocsparse_operation_iiNS_24const_host_device_scalarIT2_EEPKiS7_PKS4_iiS9_lS5_PS4_l21rocsparse_index_base_b
	.p2align	8
	.type	_ZN9rocsparseL33gebsrmm_large_blockdim_kernel_extILi8ELi8ELi2EdEEv20rocsparse_direction_20rocsparse_operation_iiNS_24const_host_device_scalarIT2_EEPKiS7_PKS4_iiS9_lS5_PS4_l21rocsparse_index_base_b,@function
_ZN9rocsparseL33gebsrmm_large_blockdim_kernel_extILi8ELi8ELi2EdEEv20rocsparse_direction_20rocsparse_operation_iiNS_24const_host_device_scalarIT2_EEPKiS7_PKS4_iiS9_lS5_PS4_l21rocsparse_index_base_b: ; @_ZN9rocsparseL33gebsrmm_large_blockdim_kernel_extILi8ELi8ELi2EdEEv20rocsparse_direction_20rocsparse_operation_iiNS_24const_host_device_scalarIT2_EEPKiS7_PKS4_iiS9_lS5_PS4_l21rocsparse_index_base_b
; %bb.0:
	s_load_dwordx2 s[24:25], s[4:5], 0x60
	s_load_dwordx2 s[2:3], s[4:5], 0x10
	s_load_dwordx4 s[12:15], s[4:5], 0x40
	s_waitcnt lgkmcnt(0)
	s_bitcmp1_b32 s25, 0
	s_cselect_b64 s[8:9], -1, 0
	v_mov_b32_e32 v5, s3
	s_xor_b64 s[0:1], s[8:9], -1
	s_and_b64 vcc, exec, s[8:9]
	v_mov_b32_e32 v4, s2
	s_cbranch_vccnz .LBB3_2
; %bb.1:
	v_mov_b32_e32 v2, s2
	v_mov_b32_e32 v3, s3
	flat_load_dwordx2 v[4:5], v[2:3]
.LBB3_2:
	v_mov_b32_e32 v6, s14
	s_andn2_b64 vcc, exec, s[0:1]
	v_mov_b32_e32 v7, s15
	s_cbranch_vccnz .LBB3_4
; %bb.3:
	v_mov_b32_e32 v2, s14
	v_mov_b32_e32 v3, s15
	flat_load_dwordx2 v[6:7], v[2:3]
.LBB3_4:
	s_waitcnt vmcnt(0) lgkmcnt(0)
	v_cmp_neq_f64_e32 vcc, 0, v[4:5]
	v_cmp_neq_f64_e64 s[0:1], 1.0, v[6:7]
	s_or_b64 s[0:1], vcc, s[0:1]
	s_and_saveexec_b64 s[2:3], s[0:1]
	s_cbranch_execz .LBB3_47
; %bb.5:
	s_load_dwordx4 s[20:23], s[4:5], 0x0
	s_mov_b32 s25, 0
	s_waitcnt lgkmcnt(0)
	s_cmp_lt_i32 s6, s22
	s_cselect_b64 s[14:15], -1, 0
	s_cmp_ge_i32 s6, s22
	s_mov_b32 s22, 0
	s_cbranch_scc1 .LBB3_7
; %bb.6:
	s_load_dwordx2 s[2:3], s[4:5], 0x18
	s_mov_b32 s0, s7
	s_ashr_i32 s7, s6, 31
	s_lshl_b64 s[8:9], s[6:7], 2
	s_mov_b32 s7, s0
	s_waitcnt lgkmcnt(0)
	s_add_u32 s0, s2, s8
	s_addc_u32 s1, s3, s9
	s_load_dwordx2 s[2:3], s[0:1], 0x0
	s_waitcnt lgkmcnt(0)
	s_sub_i32 s22, s2, s24
	s_sub_i32 s25, s3, s24
.LBB3_7:
	s_load_dwordx2 s[26:27], s[4:5], 0x50
	s_load_dwordx2 s[28:29], s[4:5], 0x30
	v_lshl_add_u32 v10, s7, 4, v1
	v_add_u32_e32 v8, 8, v10
	v_cmp_gt_i32_e64 s[2:3], s23, v10
	v_cmp_gt_i32_e64 s[0:1], s23, v8
	s_cmp_ge_i32 s22, s25
	s_waitcnt lgkmcnt(0)
	v_cmp_gt_i32_e64 s[8:9], s28, v0
	s_cbranch_scc1 .LBB3_35
; %bb.8:
	v_cmp_gt_i32_e32 vcc, s29, v1
	s_and_b64 s[34:35], s[8:9], vcc
	v_mov_b32_e32 v2, 0x400
	s_cmpk_lg_i32 s21, 0x6f
	v_lshl_or_b32 v18, v1, 3, v2
	s_cselect_b64 s[36:37], -1, 0
	s_cmp_eq_u32 s20, 0
	v_mad_u64_u32 v[2:3], s[20:21], s28, v1, v[0:1]
	v_ashrrev_i32_e32 v11, 31, v10
	v_mul_lo_u32 v3, s13, v10
	v_mul_lo_u32 v16, s12, v11
	v_mad_u64_u32 v[14:15], s[20:21], s12, v10, 0
	v_ashrrev_i32_e32 v9, 31, v8
	v_lshlrev_b32_e32 v26, 6, v1
	v_mad_u64_u32 v[12:13], s[20:21], s29, v0, v[1:2]
	v_add3_u32 v15, v15, v16, v3
	v_mul_lo_u32 v1, s13, v8
	v_mul_lo_u32 v3, s12, v9
	v_mad_u64_u32 v[16:17], s[20:21], s12, v8, 0
	s_load_dwordx4 s[16:19], s[4:5], 0x20
	s_load_dwordx2 s[30:31], s[4:5], 0x38
	s_cselect_b64 vcc, -1, 0
	v_lshlrev_b32_e32 v19, 6, v0
	s_cmp_gt_i32 s29, 0
	v_add3_u32 v17, v17, v3, v1
	s_cselect_b64 s[38:39], -1, 0
	v_cndmask_b32_e32 v1, v2, v12, vcc
	v_add_u32_e32 v27, 0x400, v19
	v_mov_b32_e32 v12, 0
	v_add_u32_e32 v28, v18, v19
	v_lshlrev_b64 v[14:15], 3, v[14:15]
	v_lshlrev_b64 v[16:17], 3, v[16:17]
	;; [unrolled: 1-line block ×4, first 2 shown]
	s_mul_i32 s7, s29, s28
	v_cmp_gt_i32_e64 s[10:11], s29, v0
	s_and_b64 s[20:21], s[2:3], s[38:39]
	s_and_b64 s[38:39], s[0:1], s[38:39]
	v_mov_b32_e32 v13, v12
	v_mov_b32_e32 v2, v12
	;; [unrolled: 1-line block ×3, first 2 shown]
	v_lshlrev_b32_e32 v9, 3, v0
	s_branch .LBB3_11
.LBB3_9:                                ;   in Loop: Header=BB3_11 Depth=1
	s_or_b64 exec, exec, s[42:43]
.LBB3_10:                               ;   in Loop: Header=BB3_11 Depth=1
	s_or_b64 exec, exec, s[40:41]
	s_add_i32 s22, s22, 1
	s_cmp_ge_i32 s22, s25
	; wave barrier
	s_cbranch_scc1 .LBB3_36
.LBB3_11:                               ; =>This Loop Header: Depth=1
                                        ;     Child Loop BB3_31 Depth 2
                                        ;     Child Loop BB3_34 Depth 2
	s_and_saveexec_b64 s[40:41], s[10:11]
	s_cbranch_execz .LBB3_26
; %bb.12:                               ;   in Loop: Header=BB3_11 Depth=1
	s_ashr_i32 s23, s22, 31
	s_lshl_b64 s[42:43], s[22:23], 2
	s_waitcnt lgkmcnt(0)
	s_add_u32 s42, s16, s42
	s_addc_u32 s43, s17, s43
	s_load_dword s23, s[42:43], 0x0
	s_andn2_b64 vcc, exec, s[36:37]
	s_waitcnt lgkmcnt(0)
	s_sub_i32 s23, s23, s24
	s_mul_i32 s23, s23, s29
	v_add_u32_e32 v22, s23, v0
	v_ashrrev_i32_e32 v23, 31, v22
	s_cbranch_vccnz .LBB3_18
; %bb.13:                               ;   in Loop: Header=BB3_11 Depth=1
	v_mul_lo_u32 v11, s13, v22
	v_mul_lo_u32 v29, s12, v23
	v_mad_u64_u32 v[24:25], s[42:43], s12, v22, 0
	v_add3_u32 v25, v25, v29, v11
	v_lshlrev_b64 v[24:25], 3, v[24:25]
	v_mov_b32_e32 v29, s31
	v_add_co_u32_e32 v11, vcc, s30, v24
	v_addc_co_u32_e32 v29, vcc, v29, v25, vcc
	s_and_saveexec_b64 s[42:43], s[2:3]
	s_cbranch_execz .LBB3_15
; %bb.14:                               ;   in Loop: Header=BB3_11 Depth=1
	v_add_co_u32_e32 v24, vcc, v11, v18
	v_addc_co_u32_e32 v25, vcc, v29, v19, vcc
	global_load_dwordx2 v[24:25], v[24:25], off
	v_add_u32_e32 v30, v9, v26
	s_waitcnt vmcnt(0)
	ds_write_b64 v30, v[24:25]
.LBB3_15:                               ;   in Loop: Header=BB3_11 Depth=1
	s_or_b64 exec, exec, s[42:43]
	s_mov_b64 s[44:45], 0
	s_mov_b64 s[42:43], 0
                                        ; implicit-def: $vgpr24_vgpr25
	s_and_saveexec_b64 s[46:47], s[0:1]
	s_xor_b64 s[46:47], exec, s[46:47]
; %bb.16:                               ;   in Loop: Header=BB3_11 Depth=1
	v_add_co_u32_e32 v24, vcc, v11, v20
	s_mov_b64 s[42:43], exec
	v_addc_co_u32_e32 v25, vcc, v29, v21, vcc
; %bb.17:                               ;   in Loop: Header=BB3_11 Depth=1
	s_or_b64 exec, exec, s[46:47]
	s_and_b64 vcc, exec, s[44:45]
	s_cbranch_vccnz .LBB3_19
	s_branch .LBB3_24
.LBB3_18:                               ;   in Loop: Header=BB3_11 Depth=1
	s_mov_b64 s[42:43], 0
                                        ; implicit-def: $vgpr24_vgpr25
	s_cbranch_execz .LBB3_24
.LBB3_19:                               ;   in Loop: Header=BB3_11 Depth=1
	v_lshlrev_b64 v[22:23], 3, v[22:23]
	v_mov_b32_e32 v24, s31
	v_add_co_u32_e32 v11, vcc, s30, v22
	v_addc_co_u32_e32 v22, vcc, v24, v23, vcc
	s_and_saveexec_b64 s[44:45], s[2:3]
	s_cbranch_execz .LBB3_21
; %bb.20:                               ;   in Loop: Header=BB3_11 Depth=1
	v_add_co_u32_e32 v23, vcc, v11, v14
	v_addc_co_u32_e32 v24, vcc, v22, v15, vcc
	global_load_dwordx2 v[23:24], v[23:24], off
	v_add_u32_e32 v25, v9, v26
	s_waitcnt vmcnt(0)
	ds_write_b64 v25, v[23:24]
.LBB3_21:                               ;   in Loop: Header=BB3_11 Depth=1
	s_or_b64 exec, exec, s[44:45]
                                        ; implicit-def: $vgpr24_vgpr25
	s_and_saveexec_b64 s[44:45], s[0:1]
; %bb.22:                               ;   in Loop: Header=BB3_11 Depth=1
	v_add_co_u32_e32 v24, vcc, v11, v16
	v_addc_co_u32_e32 v25, vcc, v22, v17, vcc
	s_or_b64 s[42:43], s[42:43], exec
; %bb.23:                               ;   in Loop: Header=BB3_11 Depth=1
	s_or_b64 exec, exec, s[44:45]
.LBB3_24:                               ;   in Loop: Header=BB3_11 Depth=1
	s_and_b64 exec, exec, s[42:43]
	s_cbranch_execz .LBB3_26
; %bb.25:                               ;   in Loop: Header=BB3_11 Depth=1
	global_load_dwordx2 v[22:23], v[24:25], off
	v_add_u32_e32 v11, v9, v26
	s_waitcnt vmcnt(0)
	ds_write_b64 v11, v[22:23] offset:512
.LBB3_26:                               ;   in Loop: Header=BB3_11 Depth=1
	s_or_b64 exec, exec, s[40:41]
	s_and_saveexec_b64 s[40:41], s[34:35]
	s_cbranch_execz .LBB3_28
; %bb.27:                               ;   in Loop: Header=BB3_11 Depth=1
	s_mul_i32 s23, s7, s22
	v_add_u32_e32 v22, s23, v1
	v_ashrrev_i32_e32 v23, 31, v22
	v_lshlrev_b64 v[22:23], 3, v[22:23]
	s_waitcnt lgkmcnt(0)
	v_mov_b32_e32 v11, s19
	v_add_co_u32_e32 v22, vcc, s18, v22
	v_addc_co_u32_e32 v23, vcc, v11, v23, vcc
	global_load_dwordx2 v[22:23], v[22:23], off
	s_waitcnt vmcnt(0)
	ds_write_b64 v28, v[22:23]
.LBB3_28:                               ;   in Loop: Header=BB3_11 Depth=1
	s_or_b64 exec, exec, s[40:41]
	s_waitcnt lgkmcnt(0)
	; wave barrier
	s_and_saveexec_b64 s[40:41], s[8:9]
	s_cbranch_execz .LBB3_10
; %bb.29:                               ;   in Loop: Header=BB3_11 Depth=1
	s_and_saveexec_b64 s[42:43], s[20:21]
	s_cbranch_execz .LBB3_32
; %bb.30:                               ;   in Loop: Header=BB3_11 Depth=1
	v_mov_b32_e32 v11, v27
	v_mov_b32_e32 v22, v26
	s_mov_b32 s23, s29
.LBB3_31:                               ;   Parent Loop BB3_11 Depth=1
                                        ; =>  This Inner Loop Header: Depth=2
	ds_read_b64 v[23:24], v11
	ds_read_b64 v[29:30], v22
	s_add_i32 s23, s23, -1
	v_add_u32_e32 v22, 8, v22
	s_cmp_lg_u32 s23, 0
	v_add_u32_e32 v11, 8, v11
	s_waitcnt lgkmcnt(0)
	v_fma_f64 v[12:13], v[23:24], v[29:30], v[12:13]
	s_cbranch_scc1 .LBB3_31
.LBB3_32:                               ;   in Loop: Header=BB3_11 Depth=1
	s_or_b64 exec, exec, s[42:43]
	s_and_saveexec_b64 s[42:43], s[38:39]
	s_cbranch_execz .LBB3_9
; %bb.33:                               ;   in Loop: Header=BB3_11 Depth=1
	v_mov_b32_e32 v11, v27
	s_mov_b32 s23, s29
	v_add_u32_e32 v22, 0x200, v26
.LBB3_34:                               ;   Parent Loop BB3_11 Depth=1
                                        ; =>  This Inner Loop Header: Depth=2
	ds_read_b64 v[23:24], v11
	ds_read_b64 v[29:30], v22
	s_add_i32 s23, s23, -1
	v_add_u32_e32 v22, 8, v22
	s_cmp_lg_u32 s23, 0
	v_add_u32_e32 v11, 8, v11
	s_waitcnt lgkmcnt(0)
	v_fma_f64 v[2:3], v[23:24], v[29:30], v[2:3]
	s_cbranch_scc1 .LBB3_34
	s_branch .LBB3_9
.LBB3_35:
	v_mov_b32_e32 v12, 0
	v_mov_b32_e32 v13, v12
	;; [unrolled: 1-line block ×4, first 2 shown]
.LBB3_36:
	s_and_b64 s[8:9], s[14:15], s[8:9]
	s_and_b64 exec, exec, s[8:9]
	s_cbranch_execz .LBB3_47
; %bb.37:
	v_cmp_neq_f64_e32 vcc, 0, v[6:7]
	s_mul_i32 s6, s28, s6
	v_add_u32_e32 v0, s6, v0
	s_load_dwordx2 s[6:7], s[4:5], 0x58
	v_ashrrev_i32_e32 v1, 31, v0
	v_lshlrev_b64 v[0:1], 3, v[0:1]
	v_mov_b32_e32 v9, s27
	v_add_co_u32_e64 v0, s[4:5], s26, v0
	v_addc_co_u32_e64 v1, s[4:5], v9, v1, s[4:5]
	s_and_saveexec_b64 s[4:5], s[2:3]
	s_cbranch_execz .LBB3_42
; %bb.38:
	v_ashrrev_i32_e32 v9, 31, v10
	s_waitcnt lgkmcnt(0)
	v_mul_lo_u32 v11, s7, v10
	v_mul_lo_u32 v9, s6, v9
	s_and_saveexec_b64 s[2:3], vcc
	s_xor_b64 s[8:9], exec, s[2:3]
	s_cbranch_execz .LBB3_40
; %bb.39:
	v_mad_u64_u32 v[14:15], s[2:3], s6, v10, 0
	v_mul_f64 v[16:17], v[4:5], v[12:13]
	v_add3_u32 v15, v15, v9, v11
	v_lshlrev_b64 v[9:10], 3, v[14:15]
                                        ; implicit-def: $vgpr11
	v_add_co_u32_e64 v9, s[2:3], v0, v9
	v_addc_co_u32_e64 v10, s[2:3], v1, v10, s[2:3]
	global_load_dwordx2 v[14:15], v[9:10], off
	s_waitcnt vmcnt(0)
	v_fma_f64 v[14:15], v[6:7], v[14:15], v[16:17]
	global_store_dwordx2 v[9:10], v[14:15], off
                                        ; implicit-def: $vgpr10
                                        ; implicit-def: $vgpr9
.LBB3_40:
	s_andn2_saveexec_b64 s[2:3], s[8:9]
	s_cbranch_execz .LBB3_42
; %bb.41:
	v_mad_u64_u32 v[14:15], s[2:3], s6, v10, 0
	v_mul_f64 v[12:13], v[4:5], v[12:13]
	v_add3_u32 v15, v15, v9, v11
	v_lshlrev_b64 v[9:10], 3, v[14:15]
	v_add_co_u32_e64 v9, s[2:3], v0, v9
	v_addc_co_u32_e64 v10, s[2:3], v1, v10, s[2:3]
	global_store_dwordx2 v[9:10], v[12:13], off
.LBB3_42:
	s_or_b64 exec, exec, s[4:5]
	s_and_b64 exec, exec, s[0:1]
	s_cbranch_execz .LBB3_47
; %bb.43:
	v_ashrrev_i32_e32 v9, 31, v8
	s_waitcnt lgkmcnt(0)
	v_mul_lo_u32 v10, s7, v8
	v_mul_lo_u32 v9, s6, v9
	s_and_saveexec_b64 s[0:1], vcc
	s_xor_b64 s[0:1], exec, s[0:1]
	s_cbranch_execz .LBB3_45
; %bb.44:
	v_mad_u64_u32 v[11:12], s[2:3], s6, v8, 0
	v_mul_f64 v[2:3], v[4:5], v[2:3]
                                        ; implicit-def: $vgpr4_vgpr5
	v_add3_u32 v12, v12, v9, v10
	v_lshlrev_b64 v[8:9], 3, v[11:12]
                                        ; implicit-def: $vgpr10
	v_add_co_u32_e32 v0, vcc, v0, v8
	v_addc_co_u32_e32 v1, vcc, v1, v9, vcc
	global_load_dwordx2 v[8:9], v[0:1], off
	s_waitcnt vmcnt(0)
	v_fma_f64 v[2:3], v[6:7], v[8:9], v[2:3]
                                        ; implicit-def: $vgpr8
                                        ; implicit-def: $vgpr9
	global_store_dwordx2 v[0:1], v[2:3], off
                                        ; implicit-def: $vgpr0_vgpr1_vgpr2_vgpr3
                                        ; implicit-def: $vgpr0
                                        ; implicit-def: $vgpr1
.LBB3_45:
	s_andn2_saveexec_b64 s[0:1], s[0:1]
	s_cbranch_execz .LBB3_47
; %bb.46:
	v_mad_u64_u32 v[6:7], s[0:1], s6, v8, 0
	v_mul_f64 v[2:3], v[4:5], v[2:3]
	v_add3_u32 v7, v7, v9, v10
	v_lshlrev_b64 v[4:5], 3, v[6:7]
	v_add_co_u32_e32 v0, vcc, v0, v4
	v_addc_co_u32_e32 v1, vcc, v1, v5, vcc
	global_store_dwordx2 v[0:1], v[2:3], off
.LBB3_47:
	s_endpgm
	.section	.rodata,"a",@progbits
	.p2align	6, 0x0
	.amdhsa_kernel _ZN9rocsparseL33gebsrmm_large_blockdim_kernel_extILi8ELi8ELi2EdEEv20rocsparse_direction_20rocsparse_operation_iiNS_24const_host_device_scalarIT2_EEPKiS7_PKS4_iiS9_lS5_PS4_l21rocsparse_index_base_b
		.amdhsa_group_segment_fixed_size 1536
		.amdhsa_private_segment_fixed_size 0
		.amdhsa_kernarg_size 104
		.amdhsa_user_sgpr_count 6
		.amdhsa_user_sgpr_private_segment_buffer 1
		.amdhsa_user_sgpr_dispatch_ptr 0
		.amdhsa_user_sgpr_queue_ptr 0
		.amdhsa_user_sgpr_kernarg_segment_ptr 1
		.amdhsa_user_sgpr_dispatch_id 0
		.amdhsa_user_sgpr_flat_scratch_init 0
		.amdhsa_user_sgpr_private_segment_size 0
		.amdhsa_uses_dynamic_stack 0
		.amdhsa_system_sgpr_private_segment_wavefront_offset 0
		.amdhsa_system_sgpr_workgroup_id_x 1
		.amdhsa_system_sgpr_workgroup_id_y 1
		.amdhsa_system_sgpr_workgroup_id_z 0
		.amdhsa_system_sgpr_workgroup_info 0
		.amdhsa_system_vgpr_workitem_id 1
		.amdhsa_next_free_vgpr 31
		.amdhsa_next_free_sgpr 48
		.amdhsa_reserve_vcc 1
		.amdhsa_reserve_flat_scratch 0
		.amdhsa_float_round_mode_32 0
		.amdhsa_float_round_mode_16_64 0
		.amdhsa_float_denorm_mode_32 3
		.amdhsa_float_denorm_mode_16_64 3
		.amdhsa_dx10_clamp 1
		.amdhsa_ieee_mode 1
		.amdhsa_fp16_overflow 0
		.amdhsa_exception_fp_ieee_invalid_op 0
		.amdhsa_exception_fp_denorm_src 0
		.amdhsa_exception_fp_ieee_div_zero 0
		.amdhsa_exception_fp_ieee_overflow 0
		.amdhsa_exception_fp_ieee_underflow 0
		.amdhsa_exception_fp_ieee_inexact 0
		.amdhsa_exception_int_div_zero 0
	.end_amdhsa_kernel
	.section	.text._ZN9rocsparseL33gebsrmm_large_blockdim_kernel_extILi8ELi8ELi2EdEEv20rocsparse_direction_20rocsparse_operation_iiNS_24const_host_device_scalarIT2_EEPKiS7_PKS4_iiS9_lS5_PS4_l21rocsparse_index_base_b,"axG",@progbits,_ZN9rocsparseL33gebsrmm_large_blockdim_kernel_extILi8ELi8ELi2EdEEv20rocsparse_direction_20rocsparse_operation_iiNS_24const_host_device_scalarIT2_EEPKiS7_PKS4_iiS9_lS5_PS4_l21rocsparse_index_base_b,comdat
.Lfunc_end3:
	.size	_ZN9rocsparseL33gebsrmm_large_blockdim_kernel_extILi8ELi8ELi2EdEEv20rocsparse_direction_20rocsparse_operation_iiNS_24const_host_device_scalarIT2_EEPKiS7_PKS4_iiS9_lS5_PS4_l21rocsparse_index_base_b, .Lfunc_end3-_ZN9rocsparseL33gebsrmm_large_blockdim_kernel_extILi8ELi8ELi2EdEEv20rocsparse_direction_20rocsparse_operation_iiNS_24const_host_device_scalarIT2_EEPKiS7_PKS4_iiS9_lS5_PS4_l21rocsparse_index_base_b
                                        ; -- End function
	.set _ZN9rocsparseL33gebsrmm_large_blockdim_kernel_extILi8ELi8ELi2EdEEv20rocsparse_direction_20rocsparse_operation_iiNS_24const_host_device_scalarIT2_EEPKiS7_PKS4_iiS9_lS5_PS4_l21rocsparse_index_base_b.num_vgpr, 31
	.set _ZN9rocsparseL33gebsrmm_large_blockdim_kernel_extILi8ELi8ELi2EdEEv20rocsparse_direction_20rocsparse_operation_iiNS_24const_host_device_scalarIT2_EEPKiS7_PKS4_iiS9_lS5_PS4_l21rocsparse_index_base_b.num_agpr, 0
	.set _ZN9rocsparseL33gebsrmm_large_blockdim_kernel_extILi8ELi8ELi2EdEEv20rocsparse_direction_20rocsparse_operation_iiNS_24const_host_device_scalarIT2_EEPKiS7_PKS4_iiS9_lS5_PS4_l21rocsparse_index_base_b.numbered_sgpr, 48
	.set _ZN9rocsparseL33gebsrmm_large_blockdim_kernel_extILi8ELi8ELi2EdEEv20rocsparse_direction_20rocsparse_operation_iiNS_24const_host_device_scalarIT2_EEPKiS7_PKS4_iiS9_lS5_PS4_l21rocsparse_index_base_b.num_named_barrier, 0
	.set _ZN9rocsparseL33gebsrmm_large_blockdim_kernel_extILi8ELi8ELi2EdEEv20rocsparse_direction_20rocsparse_operation_iiNS_24const_host_device_scalarIT2_EEPKiS7_PKS4_iiS9_lS5_PS4_l21rocsparse_index_base_b.private_seg_size, 0
	.set _ZN9rocsparseL33gebsrmm_large_blockdim_kernel_extILi8ELi8ELi2EdEEv20rocsparse_direction_20rocsparse_operation_iiNS_24const_host_device_scalarIT2_EEPKiS7_PKS4_iiS9_lS5_PS4_l21rocsparse_index_base_b.uses_vcc, 1
	.set _ZN9rocsparseL33gebsrmm_large_blockdim_kernel_extILi8ELi8ELi2EdEEv20rocsparse_direction_20rocsparse_operation_iiNS_24const_host_device_scalarIT2_EEPKiS7_PKS4_iiS9_lS5_PS4_l21rocsparse_index_base_b.uses_flat_scratch, 0
	.set _ZN9rocsparseL33gebsrmm_large_blockdim_kernel_extILi8ELi8ELi2EdEEv20rocsparse_direction_20rocsparse_operation_iiNS_24const_host_device_scalarIT2_EEPKiS7_PKS4_iiS9_lS5_PS4_l21rocsparse_index_base_b.has_dyn_sized_stack, 0
	.set _ZN9rocsparseL33gebsrmm_large_blockdim_kernel_extILi8ELi8ELi2EdEEv20rocsparse_direction_20rocsparse_operation_iiNS_24const_host_device_scalarIT2_EEPKiS7_PKS4_iiS9_lS5_PS4_l21rocsparse_index_base_b.has_recursion, 0
	.set _ZN9rocsparseL33gebsrmm_large_blockdim_kernel_extILi8ELi8ELi2EdEEv20rocsparse_direction_20rocsparse_operation_iiNS_24const_host_device_scalarIT2_EEPKiS7_PKS4_iiS9_lS5_PS4_l21rocsparse_index_base_b.has_indirect_call, 0
	.section	.AMDGPU.csdata,"",@progbits
; Kernel info:
; codeLenInByte = 1560
; TotalNumSgprs: 52
; NumVgprs: 31
; ScratchSize: 0
; MemoryBound: 0
; FloatMode: 240
; IeeeMode: 1
; LDSByteSize: 1536 bytes/workgroup (compile time only)
; SGPRBlocks: 6
; VGPRBlocks: 7
; NumSGPRsForWavesPerEU: 52
; NumVGPRsForWavesPerEU: 31
; Occupancy: 8
; WaveLimiterHint : 1
; COMPUTE_PGM_RSRC2:SCRATCH_EN: 0
; COMPUTE_PGM_RSRC2:USER_SGPR: 6
; COMPUTE_PGM_RSRC2:TRAP_HANDLER: 0
; COMPUTE_PGM_RSRC2:TGID_X_EN: 1
; COMPUTE_PGM_RSRC2:TGID_Y_EN: 1
; COMPUTE_PGM_RSRC2:TGID_Z_EN: 0
; COMPUTE_PGM_RSRC2:TIDIG_COMP_CNT: 1
	.section	.text._ZN9rocsparseL33gebsrmm_large_blockdim_kernel_extILi16ELi16ELi2EdEEv20rocsparse_direction_20rocsparse_operation_iiNS_24const_host_device_scalarIT2_EEPKiS7_PKS4_iiS9_lS5_PS4_l21rocsparse_index_base_b,"axG",@progbits,_ZN9rocsparseL33gebsrmm_large_blockdim_kernel_extILi16ELi16ELi2EdEEv20rocsparse_direction_20rocsparse_operation_iiNS_24const_host_device_scalarIT2_EEPKiS7_PKS4_iiS9_lS5_PS4_l21rocsparse_index_base_b,comdat
	.globl	_ZN9rocsparseL33gebsrmm_large_blockdim_kernel_extILi16ELi16ELi2EdEEv20rocsparse_direction_20rocsparse_operation_iiNS_24const_host_device_scalarIT2_EEPKiS7_PKS4_iiS9_lS5_PS4_l21rocsparse_index_base_b ; -- Begin function _ZN9rocsparseL33gebsrmm_large_blockdim_kernel_extILi16ELi16ELi2EdEEv20rocsparse_direction_20rocsparse_operation_iiNS_24const_host_device_scalarIT2_EEPKiS7_PKS4_iiS9_lS5_PS4_l21rocsparse_index_base_b
	.p2align	8
	.type	_ZN9rocsparseL33gebsrmm_large_blockdim_kernel_extILi16ELi16ELi2EdEEv20rocsparse_direction_20rocsparse_operation_iiNS_24const_host_device_scalarIT2_EEPKiS7_PKS4_iiS9_lS5_PS4_l21rocsparse_index_base_b,@function
_ZN9rocsparseL33gebsrmm_large_blockdim_kernel_extILi16ELi16ELi2EdEEv20rocsparse_direction_20rocsparse_operation_iiNS_24const_host_device_scalarIT2_EEPKiS7_PKS4_iiS9_lS5_PS4_l21rocsparse_index_base_b: ; @_ZN9rocsparseL33gebsrmm_large_blockdim_kernel_extILi16ELi16ELi2EdEEv20rocsparse_direction_20rocsparse_operation_iiNS_24const_host_device_scalarIT2_EEPKiS7_PKS4_iiS9_lS5_PS4_l21rocsparse_index_base_b
; %bb.0:
	s_load_dwordx2 s[24:25], s[4:5], 0x60
	s_load_dwordx2 s[2:3], s[4:5], 0x10
	s_load_dwordx4 s[16:19], s[4:5], 0x40
	s_waitcnt lgkmcnt(0)
	s_bitcmp1_b32 s25, 0
	s_cselect_b64 s[8:9], -1, 0
	v_mov_b32_e32 v5, s3
	s_xor_b64 s[0:1], s[8:9], -1
	s_and_b64 vcc, exec, s[8:9]
	v_mov_b32_e32 v4, s2
	s_cbranch_vccnz .LBB4_2
; %bb.1:
	v_mov_b32_e32 v2, s2
	v_mov_b32_e32 v3, s3
	flat_load_dwordx2 v[4:5], v[2:3]
.LBB4_2:
	v_mov_b32_e32 v6, s18
	s_andn2_b64 vcc, exec, s[0:1]
	v_mov_b32_e32 v7, s19
	s_cbranch_vccnz .LBB4_4
; %bb.3:
	v_mov_b32_e32 v2, s18
	v_mov_b32_e32 v3, s19
	flat_load_dwordx2 v[6:7], v[2:3]
.LBB4_4:
	s_waitcnt vmcnt(0) lgkmcnt(0)
	v_cmp_neq_f64_e32 vcc, 0, v[4:5]
	v_cmp_neq_f64_e64 s[0:1], 1.0, v[6:7]
	s_or_b64 s[0:1], vcc, s[0:1]
	s_and_saveexec_b64 s[2:3], s[0:1]
	s_cbranch_execz .LBB4_47
; %bb.5:
	s_load_dwordx4 s[12:15], s[4:5], 0x0
	s_mov_b32 s25, 0
	s_waitcnt lgkmcnt(0)
	s_cmp_lt_i32 s6, s14
	s_cselect_b64 s[18:19], -1, 0
	s_cmp_ge_i32 s6, s14
	s_mov_b32 s14, 0
	s_cbranch_scc1 .LBB4_7
; %bb.6:
	s_load_dwordx2 s[2:3], s[4:5], 0x18
	s_mov_b32 s0, s7
	s_ashr_i32 s7, s6, 31
	s_lshl_b64 s[8:9], s[6:7], 2
	s_mov_b32 s7, s0
	s_waitcnt lgkmcnt(0)
	s_add_u32 s0, s2, s8
	s_addc_u32 s1, s3, s9
	s_load_dwordx2 s[2:3], s[0:1], 0x0
	s_waitcnt lgkmcnt(0)
	s_sub_i32 s14, s2, s24
	s_sub_i32 s25, s3, s24
.LBB4_7:
	s_load_dwordx2 s[26:27], s[4:5], 0x50
	s_load_dwordx2 s[28:29], s[4:5], 0x30
	v_lshl_add_u32 v10, s7, 5, v1
	v_add_u32_e32 v8, 16, v10
	v_cmp_gt_i32_e64 s[2:3], s15, v10
	v_cmp_gt_i32_e64 s[0:1], s15, v8
	s_cmp_ge_i32 s14, s25
	s_waitcnt lgkmcnt(0)
	v_cmp_gt_i32_e64 s[8:9], s28, v0
	s_cbranch_scc1 .LBB4_35
; %bb.8:
	v_cmp_gt_i32_e32 vcc, s29, v1
	s_and_b64 s[34:35], s[8:9], vcc
	v_mov_b32_e32 v2, 0x1000
	s_cmpk_lg_i32 s13, 0x6f
	v_lshl_or_b32 v18, v1, 3, v2
	s_cselect_b64 s[40:41], -1, 0
	s_cmp_eq_u32 s12, 0
	v_mad_u64_u32 v[2:3], s[12:13], s28, v1, v[0:1]
	v_ashrrev_i32_e32 v11, 31, v10
	v_mul_lo_u32 v3, s17, v10
	v_mul_lo_u32 v16, s16, v11
	v_mad_u64_u32 v[14:15], s[12:13], s16, v10, 0
	v_ashrrev_i32_e32 v9, 31, v8
	v_lshlrev_b32_e32 v26, 7, v1
	v_mad_u64_u32 v[12:13], s[12:13], s29, v0, v[1:2]
	v_add3_u32 v15, v15, v16, v3
	v_mul_lo_u32 v1, s17, v8
	v_mul_lo_u32 v3, s16, v9
	v_mad_u64_u32 v[16:17], s[12:13], s16, v8, 0
	s_load_dwordx4 s[20:23], s[4:5], 0x20
	s_load_dwordx2 s[30:31], s[4:5], 0x38
	v_lshlrev_b32_e32 v19, 7, v0
	s_cselect_b64 vcc, -1, 0
	s_cmp_gt_i32 s29, 0
	v_add3_u32 v17, v17, v3, v1
	v_add_u32_e32 v28, v18, v19
	v_lshlrev_b32_e32 v18, 3, v0
	s_cselect_b64 s[12:13], -1, 0
	v_cndmask_b32_e32 v1, v2, v12, vcc
	v_add_u32_e32 v27, 0x1000, v19
	v_mov_b32_e32 v12, 0
	v_cndmask_b32_e64 v2, 0, 1, s[40:41]
	v_add_u32_e32 v29, v18, v26
	v_lshlrev_b64 v[14:15], 3, v[14:15]
	v_lshlrev_b64 v[16:17], 3, v[16:17]
	;; [unrolled: 1-line block ×4, first 2 shown]
	s_mul_i32 s7, s29, s28
	v_cmp_gt_i32_e64 s[10:11], s29, v0
	s_and_b64 s[36:37], s[2:3], s[12:13]
	s_and_b64 s[38:39], s[0:1], s[12:13]
	v_mov_b32_e32 v13, v12
	v_cmp_ne_u32_e64 s[12:13], 1, v2
	v_mov_b32_e32 v2, v12
	v_mov_b32_e32 v3, v12
	s_branch .LBB4_11
.LBB4_9:                                ;   in Loop: Header=BB4_11 Depth=1
	s_or_b64 exec, exec, s[42:43]
.LBB4_10:                               ;   in Loop: Header=BB4_11 Depth=1
	s_or_b64 exec, exec, s[40:41]
	s_add_i32 s14, s14, 1
	s_cmp_ge_i32 s14, s25
	s_barrier
	s_cbranch_scc1 .LBB4_36
.LBB4_11:                               ; =>This Loop Header: Depth=1
                                        ;     Child Loop BB4_31 Depth 2
                                        ;     Child Loop BB4_34 Depth 2
	s_and_saveexec_b64 s[40:41], s[10:11]
	s_cbranch_execz .LBB4_26
; %bb.12:                               ;   in Loop: Header=BB4_11 Depth=1
	s_ashr_i32 s15, s14, 31
	s_lshl_b64 s[42:43], s[14:15], 2
	s_waitcnt lgkmcnt(0)
	s_add_u32 s42, s20, s42
	s_addc_u32 s43, s21, s43
	s_load_dword s15, s[42:43], 0x0
	s_and_b64 vcc, exec, s[12:13]
	s_waitcnt lgkmcnt(0)
	s_sub_i32 s15, s15, s24
	s_mul_i32 s15, s15, s29
	v_add_u32_e32 v22, s15, v0
	v_ashrrev_i32_e32 v23, 31, v22
	s_cbranch_vccnz .LBB4_18
; %bb.13:                               ;   in Loop: Header=BB4_11 Depth=1
	v_mul_lo_u32 v9, s17, v22
	v_mul_lo_u32 v11, s16, v23
	v_mad_u64_u32 v[24:25], s[42:43], s16, v22, 0
	v_add3_u32 v25, v25, v11, v9
	v_lshlrev_b64 v[24:25], 3, v[24:25]
	v_mov_b32_e32 v11, s31
	v_add_co_u32_e32 v9, vcc, s30, v24
	v_addc_co_u32_e32 v11, vcc, v11, v25, vcc
	s_and_saveexec_b64 s[42:43], s[2:3]
	s_cbranch_execz .LBB4_15
; %bb.14:                               ;   in Loop: Header=BB4_11 Depth=1
	v_add_co_u32_e32 v24, vcc, v9, v18
	v_addc_co_u32_e32 v25, vcc, v11, v19, vcc
	global_load_dwordx2 v[24:25], v[24:25], off
	s_waitcnt vmcnt(0)
	ds_write_b64 v29, v[24:25]
.LBB4_15:                               ;   in Loop: Header=BB4_11 Depth=1
	s_or_b64 exec, exec, s[42:43]
	s_mov_b64 s[44:45], 0
	s_mov_b64 s[42:43], 0
                                        ; implicit-def: $vgpr24_vgpr25
	s_and_saveexec_b64 s[46:47], s[0:1]
	s_xor_b64 s[46:47], exec, s[46:47]
; %bb.16:                               ;   in Loop: Header=BB4_11 Depth=1
	v_add_co_u32_e32 v24, vcc, v9, v20
	s_mov_b64 s[42:43], exec
	v_addc_co_u32_e32 v25, vcc, v11, v21, vcc
; %bb.17:                               ;   in Loop: Header=BB4_11 Depth=1
	s_or_b64 exec, exec, s[46:47]
	s_and_b64 vcc, exec, s[44:45]
	s_cbranch_vccnz .LBB4_19
	s_branch .LBB4_24
.LBB4_18:                               ;   in Loop: Header=BB4_11 Depth=1
	s_mov_b64 s[42:43], 0
                                        ; implicit-def: $vgpr24_vgpr25
	s_cbranch_execz .LBB4_24
.LBB4_19:                               ;   in Loop: Header=BB4_11 Depth=1
	v_lshlrev_b64 v[22:23], 3, v[22:23]
	v_mov_b32_e32 v11, s31
	v_add_co_u32_e32 v9, vcc, s30, v22
	v_addc_co_u32_e32 v11, vcc, v11, v23, vcc
	s_and_saveexec_b64 s[44:45], s[2:3]
	s_cbranch_execz .LBB4_21
; %bb.20:                               ;   in Loop: Header=BB4_11 Depth=1
	v_add_co_u32_e32 v22, vcc, v9, v14
	v_addc_co_u32_e32 v23, vcc, v11, v15, vcc
	global_load_dwordx2 v[22:23], v[22:23], off
	s_waitcnt vmcnt(0)
	ds_write_b64 v29, v[22:23]
.LBB4_21:                               ;   in Loop: Header=BB4_11 Depth=1
	s_or_b64 exec, exec, s[44:45]
                                        ; implicit-def: $vgpr24_vgpr25
	s_and_saveexec_b64 s[44:45], s[0:1]
; %bb.22:                               ;   in Loop: Header=BB4_11 Depth=1
	v_add_co_u32_e32 v24, vcc, v9, v16
	v_addc_co_u32_e32 v25, vcc, v11, v17, vcc
	s_or_b64 s[42:43], s[42:43], exec
; %bb.23:                               ;   in Loop: Header=BB4_11 Depth=1
	s_or_b64 exec, exec, s[44:45]
.LBB4_24:                               ;   in Loop: Header=BB4_11 Depth=1
	s_and_b64 exec, exec, s[42:43]
	s_cbranch_execz .LBB4_26
; %bb.25:                               ;   in Loop: Header=BB4_11 Depth=1
	global_load_dwordx2 v[22:23], v[24:25], off
	s_waitcnt vmcnt(0)
	ds_write_b64 v29, v[22:23] offset:2048
.LBB4_26:                               ;   in Loop: Header=BB4_11 Depth=1
	s_or_b64 exec, exec, s[40:41]
	s_and_saveexec_b64 s[40:41], s[34:35]
	s_cbranch_execz .LBB4_28
; %bb.27:                               ;   in Loop: Header=BB4_11 Depth=1
	s_mul_i32 s15, s7, s14
	v_add_u32_e32 v22, s15, v1
	v_ashrrev_i32_e32 v23, 31, v22
	v_lshlrev_b64 v[22:23], 3, v[22:23]
	s_waitcnt lgkmcnt(0)
	v_mov_b32_e32 v9, s23
	v_add_co_u32_e32 v22, vcc, s22, v22
	v_addc_co_u32_e32 v23, vcc, v9, v23, vcc
	global_load_dwordx2 v[22:23], v[22:23], off
	s_waitcnt vmcnt(0)
	ds_write_b64 v28, v[22:23]
.LBB4_28:                               ;   in Loop: Header=BB4_11 Depth=1
	s_or_b64 exec, exec, s[40:41]
	s_waitcnt lgkmcnt(0)
	s_barrier
	s_and_saveexec_b64 s[40:41], s[8:9]
	s_cbranch_execz .LBB4_10
; %bb.29:                               ;   in Loop: Header=BB4_11 Depth=1
	s_and_saveexec_b64 s[42:43], s[36:37]
	s_cbranch_execz .LBB4_32
; %bb.30:                               ;   in Loop: Header=BB4_11 Depth=1
	v_mov_b32_e32 v9, v27
	v_mov_b32_e32 v11, v26
	s_mov_b32 s15, s29
.LBB4_31:                               ;   Parent Loop BB4_11 Depth=1
                                        ; =>  This Inner Loop Header: Depth=2
	ds_read_b64 v[22:23], v9
	ds_read_b64 v[24:25], v11
	s_add_i32 s15, s15, -1
	v_add_u32_e32 v11, 8, v11
	s_cmp_lg_u32 s15, 0
	v_add_u32_e32 v9, 8, v9
	s_waitcnt lgkmcnt(0)
	v_fma_f64 v[12:13], v[22:23], v[24:25], v[12:13]
	s_cbranch_scc1 .LBB4_31
.LBB4_32:                               ;   in Loop: Header=BB4_11 Depth=1
	s_or_b64 exec, exec, s[42:43]
	s_and_saveexec_b64 s[42:43], s[38:39]
	s_cbranch_execz .LBB4_9
; %bb.33:                               ;   in Loop: Header=BB4_11 Depth=1
	v_mov_b32_e32 v9, v27
	s_mov_b32 s15, s29
	v_add_u32_e32 v11, 0x800, v26
.LBB4_34:                               ;   Parent Loop BB4_11 Depth=1
                                        ; =>  This Inner Loop Header: Depth=2
	ds_read_b64 v[22:23], v9
	ds_read_b64 v[24:25], v11
	s_add_i32 s15, s15, -1
	v_add_u32_e32 v11, 8, v11
	s_cmp_lg_u32 s15, 0
	v_add_u32_e32 v9, 8, v9
	s_waitcnt lgkmcnt(0)
	v_fma_f64 v[2:3], v[22:23], v[24:25], v[2:3]
	s_cbranch_scc1 .LBB4_34
	s_branch .LBB4_9
.LBB4_35:
	v_mov_b32_e32 v12, 0
	v_mov_b32_e32 v13, v12
	;; [unrolled: 1-line block ×4, first 2 shown]
.LBB4_36:
	s_and_b64 s[8:9], s[18:19], s[8:9]
	s_and_b64 exec, exec, s[8:9]
	s_cbranch_execz .LBB4_47
; %bb.37:
	v_cmp_neq_f64_e32 vcc, 0, v[6:7]
	s_mul_i32 s6, s28, s6
	v_add_u32_e32 v0, s6, v0
	s_load_dwordx2 s[6:7], s[4:5], 0x58
	v_ashrrev_i32_e32 v1, 31, v0
	v_lshlrev_b64 v[0:1], 3, v[0:1]
	v_mov_b32_e32 v9, s27
	v_add_co_u32_e64 v0, s[4:5], s26, v0
	v_addc_co_u32_e64 v1, s[4:5], v9, v1, s[4:5]
	s_and_saveexec_b64 s[4:5], s[2:3]
	s_cbranch_execz .LBB4_42
; %bb.38:
	v_ashrrev_i32_e32 v9, 31, v10
	s_waitcnt lgkmcnt(0)
	v_mul_lo_u32 v11, s7, v10
	v_mul_lo_u32 v9, s6, v9
	s_and_saveexec_b64 s[2:3], vcc
	s_xor_b64 s[8:9], exec, s[2:3]
	s_cbranch_execz .LBB4_40
; %bb.39:
	v_mad_u64_u32 v[14:15], s[2:3], s6, v10, 0
	v_mul_f64 v[16:17], v[4:5], v[12:13]
	v_add3_u32 v15, v15, v9, v11
	v_lshlrev_b64 v[9:10], 3, v[14:15]
                                        ; implicit-def: $vgpr11
	v_add_co_u32_e64 v9, s[2:3], v0, v9
	v_addc_co_u32_e64 v10, s[2:3], v1, v10, s[2:3]
	global_load_dwordx2 v[14:15], v[9:10], off
	s_waitcnt vmcnt(0)
	v_fma_f64 v[14:15], v[6:7], v[14:15], v[16:17]
	global_store_dwordx2 v[9:10], v[14:15], off
                                        ; implicit-def: $vgpr10
                                        ; implicit-def: $vgpr9
.LBB4_40:
	s_andn2_saveexec_b64 s[2:3], s[8:9]
	s_cbranch_execz .LBB4_42
; %bb.41:
	v_mad_u64_u32 v[14:15], s[2:3], s6, v10, 0
	v_mul_f64 v[12:13], v[4:5], v[12:13]
	v_add3_u32 v15, v15, v9, v11
	v_lshlrev_b64 v[9:10], 3, v[14:15]
	v_add_co_u32_e64 v9, s[2:3], v0, v9
	v_addc_co_u32_e64 v10, s[2:3], v1, v10, s[2:3]
	global_store_dwordx2 v[9:10], v[12:13], off
.LBB4_42:
	s_or_b64 exec, exec, s[4:5]
	s_and_b64 exec, exec, s[0:1]
	s_cbranch_execz .LBB4_47
; %bb.43:
	v_ashrrev_i32_e32 v9, 31, v8
	s_waitcnt lgkmcnt(0)
	v_mul_lo_u32 v10, s7, v8
	v_mul_lo_u32 v9, s6, v9
	s_and_saveexec_b64 s[0:1], vcc
	s_xor_b64 s[0:1], exec, s[0:1]
	s_cbranch_execz .LBB4_45
; %bb.44:
	v_mad_u64_u32 v[11:12], s[2:3], s6, v8, 0
	v_mul_f64 v[2:3], v[4:5], v[2:3]
                                        ; implicit-def: $vgpr4_vgpr5
	v_add3_u32 v12, v12, v9, v10
	v_lshlrev_b64 v[8:9], 3, v[11:12]
                                        ; implicit-def: $vgpr10
	v_add_co_u32_e32 v0, vcc, v0, v8
	v_addc_co_u32_e32 v1, vcc, v1, v9, vcc
	global_load_dwordx2 v[8:9], v[0:1], off
	s_waitcnt vmcnt(0)
	v_fma_f64 v[2:3], v[6:7], v[8:9], v[2:3]
                                        ; implicit-def: $vgpr8
                                        ; implicit-def: $vgpr9
	global_store_dwordx2 v[0:1], v[2:3], off
                                        ; implicit-def: $vgpr0_vgpr1_vgpr2_vgpr3
                                        ; implicit-def: $vgpr0
                                        ; implicit-def: $vgpr1
.LBB4_45:
	s_andn2_saveexec_b64 s[0:1], s[0:1]
	s_cbranch_execz .LBB4_47
; %bb.46:
	v_mad_u64_u32 v[6:7], s[0:1], s6, v8, 0
	v_mul_f64 v[2:3], v[4:5], v[2:3]
	v_add3_u32 v7, v7, v9, v10
	v_lshlrev_b64 v[4:5], 3, v[6:7]
	v_add_co_u32_e32 v0, vcc, v0, v4
	v_addc_co_u32_e32 v1, vcc, v1, v5, vcc
	global_store_dwordx2 v[0:1], v[2:3], off
.LBB4_47:
	s_endpgm
	.section	.rodata,"a",@progbits
	.p2align	6, 0x0
	.amdhsa_kernel _ZN9rocsparseL33gebsrmm_large_blockdim_kernel_extILi16ELi16ELi2EdEEv20rocsparse_direction_20rocsparse_operation_iiNS_24const_host_device_scalarIT2_EEPKiS7_PKS4_iiS9_lS5_PS4_l21rocsparse_index_base_b
		.amdhsa_group_segment_fixed_size 6144
		.amdhsa_private_segment_fixed_size 0
		.amdhsa_kernarg_size 104
		.amdhsa_user_sgpr_count 6
		.amdhsa_user_sgpr_private_segment_buffer 1
		.amdhsa_user_sgpr_dispatch_ptr 0
		.amdhsa_user_sgpr_queue_ptr 0
		.amdhsa_user_sgpr_kernarg_segment_ptr 1
		.amdhsa_user_sgpr_dispatch_id 0
		.amdhsa_user_sgpr_flat_scratch_init 0
		.amdhsa_user_sgpr_private_segment_size 0
		.amdhsa_uses_dynamic_stack 0
		.amdhsa_system_sgpr_private_segment_wavefront_offset 0
		.amdhsa_system_sgpr_workgroup_id_x 1
		.amdhsa_system_sgpr_workgroup_id_y 1
		.amdhsa_system_sgpr_workgroup_id_z 0
		.amdhsa_system_sgpr_workgroup_info 0
		.amdhsa_system_vgpr_workitem_id 1
		.amdhsa_next_free_vgpr 30
		.amdhsa_next_free_sgpr 48
		.amdhsa_reserve_vcc 1
		.amdhsa_reserve_flat_scratch 0
		.amdhsa_float_round_mode_32 0
		.amdhsa_float_round_mode_16_64 0
		.amdhsa_float_denorm_mode_32 3
		.amdhsa_float_denorm_mode_16_64 3
		.amdhsa_dx10_clamp 1
		.amdhsa_ieee_mode 1
		.amdhsa_fp16_overflow 0
		.amdhsa_exception_fp_ieee_invalid_op 0
		.amdhsa_exception_fp_denorm_src 0
		.amdhsa_exception_fp_ieee_div_zero 0
		.amdhsa_exception_fp_ieee_overflow 0
		.amdhsa_exception_fp_ieee_underflow 0
		.amdhsa_exception_fp_ieee_inexact 0
		.amdhsa_exception_int_div_zero 0
	.end_amdhsa_kernel
	.section	.text._ZN9rocsparseL33gebsrmm_large_blockdim_kernel_extILi16ELi16ELi2EdEEv20rocsparse_direction_20rocsparse_operation_iiNS_24const_host_device_scalarIT2_EEPKiS7_PKS4_iiS9_lS5_PS4_l21rocsparse_index_base_b,"axG",@progbits,_ZN9rocsparseL33gebsrmm_large_blockdim_kernel_extILi16ELi16ELi2EdEEv20rocsparse_direction_20rocsparse_operation_iiNS_24const_host_device_scalarIT2_EEPKiS7_PKS4_iiS9_lS5_PS4_l21rocsparse_index_base_b,comdat
.Lfunc_end4:
	.size	_ZN9rocsparseL33gebsrmm_large_blockdim_kernel_extILi16ELi16ELi2EdEEv20rocsparse_direction_20rocsparse_operation_iiNS_24const_host_device_scalarIT2_EEPKiS7_PKS4_iiS9_lS5_PS4_l21rocsparse_index_base_b, .Lfunc_end4-_ZN9rocsparseL33gebsrmm_large_blockdim_kernel_extILi16ELi16ELi2EdEEv20rocsparse_direction_20rocsparse_operation_iiNS_24const_host_device_scalarIT2_EEPKiS7_PKS4_iiS9_lS5_PS4_l21rocsparse_index_base_b
                                        ; -- End function
	.set _ZN9rocsparseL33gebsrmm_large_blockdim_kernel_extILi16ELi16ELi2EdEEv20rocsparse_direction_20rocsparse_operation_iiNS_24const_host_device_scalarIT2_EEPKiS7_PKS4_iiS9_lS5_PS4_l21rocsparse_index_base_b.num_vgpr, 30
	.set _ZN9rocsparseL33gebsrmm_large_blockdim_kernel_extILi16ELi16ELi2EdEEv20rocsparse_direction_20rocsparse_operation_iiNS_24const_host_device_scalarIT2_EEPKiS7_PKS4_iiS9_lS5_PS4_l21rocsparse_index_base_b.num_agpr, 0
	.set _ZN9rocsparseL33gebsrmm_large_blockdim_kernel_extILi16ELi16ELi2EdEEv20rocsparse_direction_20rocsparse_operation_iiNS_24const_host_device_scalarIT2_EEPKiS7_PKS4_iiS9_lS5_PS4_l21rocsparse_index_base_b.numbered_sgpr, 48
	.set _ZN9rocsparseL33gebsrmm_large_blockdim_kernel_extILi16ELi16ELi2EdEEv20rocsparse_direction_20rocsparse_operation_iiNS_24const_host_device_scalarIT2_EEPKiS7_PKS4_iiS9_lS5_PS4_l21rocsparse_index_base_b.num_named_barrier, 0
	.set _ZN9rocsparseL33gebsrmm_large_blockdim_kernel_extILi16ELi16ELi2EdEEv20rocsparse_direction_20rocsparse_operation_iiNS_24const_host_device_scalarIT2_EEPKiS7_PKS4_iiS9_lS5_PS4_l21rocsparse_index_base_b.private_seg_size, 0
	.set _ZN9rocsparseL33gebsrmm_large_blockdim_kernel_extILi16ELi16ELi2EdEEv20rocsparse_direction_20rocsparse_operation_iiNS_24const_host_device_scalarIT2_EEPKiS7_PKS4_iiS9_lS5_PS4_l21rocsparse_index_base_b.uses_vcc, 1
	.set _ZN9rocsparseL33gebsrmm_large_blockdim_kernel_extILi16ELi16ELi2EdEEv20rocsparse_direction_20rocsparse_operation_iiNS_24const_host_device_scalarIT2_EEPKiS7_PKS4_iiS9_lS5_PS4_l21rocsparse_index_base_b.uses_flat_scratch, 0
	.set _ZN9rocsparseL33gebsrmm_large_blockdim_kernel_extILi16ELi16ELi2EdEEv20rocsparse_direction_20rocsparse_operation_iiNS_24const_host_device_scalarIT2_EEPKiS7_PKS4_iiS9_lS5_PS4_l21rocsparse_index_base_b.has_dyn_sized_stack, 0
	.set _ZN9rocsparseL33gebsrmm_large_blockdim_kernel_extILi16ELi16ELi2EdEEv20rocsparse_direction_20rocsparse_operation_iiNS_24const_host_device_scalarIT2_EEPKiS7_PKS4_iiS9_lS5_PS4_l21rocsparse_index_base_b.has_recursion, 0
	.set _ZN9rocsparseL33gebsrmm_large_blockdim_kernel_extILi16ELi16ELi2EdEEv20rocsparse_direction_20rocsparse_operation_iiNS_24const_host_device_scalarIT2_EEPKiS7_PKS4_iiS9_lS5_PS4_l21rocsparse_index_base_b.has_indirect_call, 0
	.section	.AMDGPU.csdata,"",@progbits
; Kernel info:
; codeLenInByte = 1576
; TotalNumSgprs: 52
; NumVgprs: 30
; ScratchSize: 0
; MemoryBound: 0
; FloatMode: 240
; IeeeMode: 1
; LDSByteSize: 6144 bytes/workgroup (compile time only)
; SGPRBlocks: 6
; VGPRBlocks: 7
; NumSGPRsForWavesPerEU: 52
; NumVGPRsForWavesPerEU: 30
; Occupancy: 8
; WaveLimiterHint : 1
; COMPUTE_PGM_RSRC2:SCRATCH_EN: 0
; COMPUTE_PGM_RSRC2:USER_SGPR: 6
; COMPUTE_PGM_RSRC2:TRAP_HANDLER: 0
; COMPUTE_PGM_RSRC2:TGID_X_EN: 1
; COMPUTE_PGM_RSRC2:TGID_Y_EN: 1
; COMPUTE_PGM_RSRC2:TGID_Z_EN: 0
; COMPUTE_PGM_RSRC2:TIDIG_COMP_CNT: 1
	.section	.text._ZN9rocsparseL33gebsrmm_large_blockdim_kernel_extILi32ELi32ELi2EdEEv20rocsparse_direction_20rocsparse_operation_iiNS_24const_host_device_scalarIT2_EEPKiS7_PKS4_iiS9_lS5_PS4_l21rocsparse_index_base_b,"axG",@progbits,_ZN9rocsparseL33gebsrmm_large_blockdim_kernel_extILi32ELi32ELi2EdEEv20rocsparse_direction_20rocsparse_operation_iiNS_24const_host_device_scalarIT2_EEPKiS7_PKS4_iiS9_lS5_PS4_l21rocsparse_index_base_b,comdat
	.globl	_ZN9rocsparseL33gebsrmm_large_blockdim_kernel_extILi32ELi32ELi2EdEEv20rocsparse_direction_20rocsparse_operation_iiNS_24const_host_device_scalarIT2_EEPKiS7_PKS4_iiS9_lS5_PS4_l21rocsparse_index_base_b ; -- Begin function _ZN9rocsparseL33gebsrmm_large_blockdim_kernel_extILi32ELi32ELi2EdEEv20rocsparse_direction_20rocsparse_operation_iiNS_24const_host_device_scalarIT2_EEPKiS7_PKS4_iiS9_lS5_PS4_l21rocsparse_index_base_b
	.p2align	8
	.type	_ZN9rocsparseL33gebsrmm_large_blockdim_kernel_extILi32ELi32ELi2EdEEv20rocsparse_direction_20rocsparse_operation_iiNS_24const_host_device_scalarIT2_EEPKiS7_PKS4_iiS9_lS5_PS4_l21rocsparse_index_base_b,@function
_ZN9rocsparseL33gebsrmm_large_blockdim_kernel_extILi32ELi32ELi2EdEEv20rocsparse_direction_20rocsparse_operation_iiNS_24const_host_device_scalarIT2_EEPKiS7_PKS4_iiS9_lS5_PS4_l21rocsparse_index_base_b: ; @_ZN9rocsparseL33gebsrmm_large_blockdim_kernel_extILi32ELi32ELi2EdEEv20rocsparse_direction_20rocsparse_operation_iiNS_24const_host_device_scalarIT2_EEPKiS7_PKS4_iiS9_lS5_PS4_l21rocsparse_index_base_b
; %bb.0:
	s_load_dwordx2 s[24:25], s[4:5], 0x60
	s_load_dwordx2 s[2:3], s[4:5], 0x10
	s_load_dwordx4 s[16:19], s[4:5], 0x40
	s_waitcnt lgkmcnt(0)
	s_bitcmp1_b32 s25, 0
	s_cselect_b64 s[8:9], -1, 0
	v_mov_b32_e32 v5, s3
	s_xor_b64 s[0:1], s[8:9], -1
	s_and_b64 vcc, exec, s[8:9]
	v_mov_b32_e32 v4, s2
	s_cbranch_vccnz .LBB5_2
; %bb.1:
	v_mov_b32_e32 v2, s2
	v_mov_b32_e32 v3, s3
	flat_load_dwordx2 v[4:5], v[2:3]
.LBB5_2:
	v_mov_b32_e32 v6, s18
	s_andn2_b64 vcc, exec, s[0:1]
	v_mov_b32_e32 v7, s19
	s_cbranch_vccnz .LBB5_4
; %bb.3:
	v_mov_b32_e32 v2, s18
	v_mov_b32_e32 v3, s19
	flat_load_dwordx2 v[6:7], v[2:3]
.LBB5_4:
	s_waitcnt vmcnt(0) lgkmcnt(0)
	v_cmp_neq_f64_e32 vcc, 0, v[4:5]
	v_cmp_neq_f64_e64 s[0:1], 1.0, v[6:7]
	s_or_b64 s[0:1], vcc, s[0:1]
	s_and_saveexec_b64 s[2:3], s[0:1]
	s_cbranch_execz .LBB5_47
; %bb.5:
	s_load_dwordx4 s[12:15], s[4:5], 0x0
	s_mov_b32 s25, 0
	s_waitcnt lgkmcnt(0)
	s_cmp_lt_i32 s6, s14
	s_cselect_b64 s[18:19], -1, 0
	s_cmp_ge_i32 s6, s14
	s_mov_b32 s14, 0
	s_cbranch_scc1 .LBB5_7
; %bb.6:
	s_load_dwordx2 s[2:3], s[4:5], 0x18
	s_mov_b32 s0, s7
	s_ashr_i32 s7, s6, 31
	s_lshl_b64 s[8:9], s[6:7], 2
	s_mov_b32 s7, s0
	s_waitcnt lgkmcnt(0)
	s_add_u32 s0, s2, s8
	s_addc_u32 s1, s3, s9
	s_load_dwordx2 s[2:3], s[0:1], 0x0
	s_waitcnt lgkmcnt(0)
	s_sub_i32 s14, s2, s24
	s_sub_i32 s25, s3, s24
.LBB5_7:
	s_load_dwordx2 s[26:27], s[4:5], 0x50
	s_load_dwordx2 s[28:29], s[4:5], 0x30
	v_lshl_add_u32 v10, s7, 6, v1
	v_add_u32_e32 v8, 32, v10
	v_cmp_gt_i32_e64 s[2:3], s15, v10
	v_cmp_gt_i32_e64 s[0:1], s15, v8
	s_cmp_ge_i32 s14, s25
	s_waitcnt lgkmcnt(0)
	v_cmp_gt_i32_e64 s[8:9], s28, v0
	s_cbranch_scc1 .LBB5_35
; %bb.8:
	v_cmp_gt_i32_e32 vcc, s29, v1
	s_and_b64 s[34:35], s[8:9], vcc
	v_mov_b32_e32 v2, 0x4000
	s_cmpk_lg_i32 s13, 0x6f
	v_lshl_or_b32 v22, v1, 3, v2
	s_cselect_b64 s[40:41], -1, 0
	s_cmp_eq_u32 s12, 0
	v_mad_u64_u32 v[2:3], s[12:13], s28, v1, v[0:1]
	v_ashrrev_i32_e32 v11, 31, v10
	v_ashrrev_i32_e32 v9, 31, v8
	v_mad_u64_u32 v[12:13], s[12:13], s29, v0, v[1:2]
	v_lshlrev_b32_e32 v26, 8, v1
	v_mul_lo_u32 v1, s17, v10
	v_mul_lo_u32 v3, s16, v11
	v_mad_u64_u32 v[18:19], s[12:13], s16, v10, 0
	v_mul_lo_u32 v13, s17, v8
	v_mul_lo_u32 v14, s16, v9
	v_mad_u64_u32 v[20:21], s[12:13], s16, v8, 0
	s_load_dwordx4 s[20:23], s[4:5], 0x20
	s_load_dwordx2 s[30:31], s[4:5], 0x38
	s_cselect_b64 vcc, -1, 0
	s_cmp_gt_i32 s29, 0
	s_cselect_b64 s[12:13], -1, 0
	v_add3_u32 v19, v19, v3, v1
	v_add3_u32 v21, v21, v14, v13
	v_cndmask_b32_e64 v14, 0, 1, s[40:41]
	v_lshlrev_b32_e32 v23, 3, v0
	v_lshlrev_b32_e32 v24, 8, v0
	s_and_b64 s[36:37], s[2:3], s[12:13]
	s_and_b64 s[38:39], s[0:1], s[12:13]
	v_cndmask_b32_e32 v1, v2, v12, vcc
	v_mov_b32_e32 v12, 0
	v_cmp_ne_u32_e64 s[12:13], 1, v14
	v_lshlrev_b64 v[14:15], 3, v[10:11]
	v_lshlrev_b64 v[16:17], 3, v[8:9]
	;; [unrolled: 1-line block ×4, first 2 shown]
	s_mul_i32 s7, s29, s28
	v_cmp_gt_i32_e64 s[10:11], s29, v0
	v_add_u32_e32 v27, 0x4000, v24
	v_mov_b32_e32 v13, v12
	v_mov_b32_e32 v2, v12
	;; [unrolled: 1-line block ×3, first 2 shown]
	v_add_u32_e32 v9, v22, v24
	v_add_u32_e32 v11, v23, v26
	s_branch .LBB5_11
.LBB5_9:                                ;   in Loop: Header=BB5_11 Depth=1
	s_or_b64 exec, exec, s[42:43]
.LBB5_10:                               ;   in Loop: Header=BB5_11 Depth=1
	s_or_b64 exec, exec, s[40:41]
	s_add_i32 s14, s14, 1
	s_cmp_ge_i32 s14, s25
	s_barrier
	s_cbranch_scc1 .LBB5_36
.LBB5_11:                               ; =>This Loop Header: Depth=1
                                        ;     Child Loop BB5_31 Depth 2
                                        ;     Child Loop BB5_34 Depth 2
	s_and_saveexec_b64 s[40:41], s[10:11]
	s_cbranch_execz .LBB5_26
; %bb.12:                               ;   in Loop: Header=BB5_11 Depth=1
	s_ashr_i32 s15, s14, 31
	s_lshl_b64 s[42:43], s[14:15], 2
	s_waitcnt lgkmcnt(0)
	s_add_u32 s42, s20, s42
	s_addc_u32 s43, s21, s43
	s_load_dword s15, s[42:43], 0x0
	s_and_b64 vcc, exec, s[12:13]
	s_waitcnt lgkmcnt(0)
	s_sub_i32 s15, s15, s24
	s_mul_i32 s15, s15, s29
	v_add_u32_e32 v22, s15, v0
	v_ashrrev_i32_e32 v23, 31, v22
	s_cbranch_vccnz .LBB5_18
; %bb.13:                               ;   in Loop: Header=BB5_11 Depth=1
	v_mul_lo_u32 v28, s17, v22
	v_mul_lo_u32 v29, s16, v23
	v_mad_u64_u32 v[24:25], s[42:43], s16, v22, 0
	v_add3_u32 v25, v25, v29, v28
	v_lshlrev_b64 v[24:25], 3, v[24:25]
	v_mov_b32_e32 v29, s31
	v_add_co_u32_e32 v28, vcc, s30, v24
	v_addc_co_u32_e32 v29, vcc, v29, v25, vcc
	s_and_saveexec_b64 s[42:43], s[2:3]
	s_cbranch_execz .LBB5_15
; %bb.14:                               ;   in Loop: Header=BB5_11 Depth=1
	v_add_co_u32_e32 v24, vcc, v28, v14
	v_addc_co_u32_e32 v25, vcc, v29, v15, vcc
	global_load_dwordx2 v[24:25], v[24:25], off
	s_waitcnt vmcnt(0)
	ds_write_b64 v11, v[24:25]
.LBB5_15:                               ;   in Loop: Header=BB5_11 Depth=1
	s_or_b64 exec, exec, s[42:43]
	s_mov_b64 s[44:45], 0
	s_mov_b64 s[42:43], 0
                                        ; implicit-def: $vgpr24_vgpr25
	s_and_saveexec_b64 s[46:47], s[0:1]
	s_xor_b64 s[46:47], exec, s[46:47]
; %bb.16:                               ;   in Loop: Header=BB5_11 Depth=1
	v_add_co_u32_e32 v24, vcc, v28, v16
	s_mov_b64 s[42:43], exec
	v_addc_co_u32_e32 v25, vcc, v29, v17, vcc
; %bb.17:                               ;   in Loop: Header=BB5_11 Depth=1
	s_or_b64 exec, exec, s[46:47]
	s_and_b64 vcc, exec, s[44:45]
	s_cbranch_vccnz .LBB5_19
	s_branch .LBB5_24
.LBB5_18:                               ;   in Loop: Header=BB5_11 Depth=1
	s_mov_b64 s[42:43], 0
                                        ; implicit-def: $vgpr24_vgpr25
	s_cbranch_execz .LBB5_24
.LBB5_19:                               ;   in Loop: Header=BB5_11 Depth=1
	v_lshlrev_b64 v[22:23], 3, v[22:23]
	v_mov_b32_e32 v24, s31
	v_add_co_u32_e32 v22, vcc, s30, v22
	v_addc_co_u32_e32 v23, vcc, v24, v23, vcc
	s_and_saveexec_b64 s[44:45], s[2:3]
	s_cbranch_execz .LBB5_21
; %bb.20:                               ;   in Loop: Header=BB5_11 Depth=1
	v_add_co_u32_e32 v24, vcc, v22, v18
	v_addc_co_u32_e32 v25, vcc, v23, v19, vcc
	global_load_dwordx2 v[24:25], v[24:25], off
	s_waitcnt vmcnt(0)
	ds_write_b64 v11, v[24:25]
.LBB5_21:                               ;   in Loop: Header=BB5_11 Depth=1
	s_or_b64 exec, exec, s[44:45]
                                        ; implicit-def: $vgpr24_vgpr25
	s_and_saveexec_b64 s[44:45], s[0:1]
; %bb.22:                               ;   in Loop: Header=BB5_11 Depth=1
	v_add_co_u32_e32 v24, vcc, v22, v20
	v_addc_co_u32_e32 v25, vcc, v23, v21, vcc
	s_or_b64 s[42:43], s[42:43], exec
; %bb.23:                               ;   in Loop: Header=BB5_11 Depth=1
	s_or_b64 exec, exec, s[44:45]
.LBB5_24:                               ;   in Loop: Header=BB5_11 Depth=1
	s_and_b64 exec, exec, s[42:43]
	s_cbranch_execz .LBB5_26
; %bb.25:                               ;   in Loop: Header=BB5_11 Depth=1
	global_load_dwordx2 v[22:23], v[24:25], off
	s_waitcnt vmcnt(0)
	ds_write_b64 v11, v[22:23] offset:8192
.LBB5_26:                               ;   in Loop: Header=BB5_11 Depth=1
	s_or_b64 exec, exec, s[40:41]
	s_and_saveexec_b64 s[40:41], s[34:35]
	s_cbranch_execz .LBB5_28
; %bb.27:                               ;   in Loop: Header=BB5_11 Depth=1
	s_mul_i32 s15, s7, s14
	v_add_u32_e32 v22, s15, v1
	v_ashrrev_i32_e32 v23, 31, v22
	v_lshlrev_b64 v[22:23], 3, v[22:23]
	s_waitcnt lgkmcnt(0)
	v_mov_b32_e32 v24, s23
	v_add_co_u32_e32 v22, vcc, s22, v22
	v_addc_co_u32_e32 v23, vcc, v24, v23, vcc
	global_load_dwordx2 v[22:23], v[22:23], off
	s_waitcnt vmcnt(0)
	ds_write_b64 v9, v[22:23]
.LBB5_28:                               ;   in Loop: Header=BB5_11 Depth=1
	s_or_b64 exec, exec, s[40:41]
	s_waitcnt lgkmcnt(0)
	s_barrier
	s_and_saveexec_b64 s[40:41], s[8:9]
	s_cbranch_execz .LBB5_10
; %bb.29:                               ;   in Loop: Header=BB5_11 Depth=1
	s_and_saveexec_b64 s[42:43], s[36:37]
	s_cbranch_execz .LBB5_32
; %bb.30:                               ;   in Loop: Header=BB5_11 Depth=1
	v_mov_b32_e32 v22, v27
	v_mov_b32_e32 v23, v26
	s_mov_b32 s15, s29
.LBB5_31:                               ;   Parent Loop BB5_11 Depth=1
                                        ; =>  This Inner Loop Header: Depth=2
	ds_read_b64 v[24:25], v22
	ds_read_b64 v[28:29], v23
	s_add_i32 s15, s15, -1
	v_add_u32_e32 v23, 8, v23
	s_cmp_lg_u32 s15, 0
	v_add_u32_e32 v22, 8, v22
	s_waitcnt lgkmcnt(0)
	v_fma_f64 v[12:13], v[24:25], v[28:29], v[12:13]
	s_cbranch_scc1 .LBB5_31
.LBB5_32:                               ;   in Loop: Header=BB5_11 Depth=1
	s_or_b64 exec, exec, s[42:43]
	s_and_saveexec_b64 s[42:43], s[38:39]
	s_cbranch_execz .LBB5_9
; %bb.33:                               ;   in Loop: Header=BB5_11 Depth=1
	v_mov_b32_e32 v22, v27
	s_mov_b32 s15, s29
	v_add_u32_e32 v23, 0x2000, v26
.LBB5_34:                               ;   Parent Loop BB5_11 Depth=1
                                        ; =>  This Inner Loop Header: Depth=2
	ds_read_b64 v[24:25], v22
	ds_read_b64 v[28:29], v23
	s_add_i32 s15, s15, -1
	v_add_u32_e32 v23, 8, v23
	s_cmp_lg_u32 s15, 0
	v_add_u32_e32 v22, 8, v22
	s_waitcnt lgkmcnt(0)
	v_fma_f64 v[2:3], v[24:25], v[28:29], v[2:3]
	s_cbranch_scc1 .LBB5_34
	s_branch .LBB5_9
.LBB5_35:
	v_mov_b32_e32 v12, 0
	v_mov_b32_e32 v13, v12
	;; [unrolled: 1-line block ×4, first 2 shown]
.LBB5_36:
	s_and_b64 s[8:9], s[18:19], s[8:9]
	s_and_b64 exec, exec, s[8:9]
	s_cbranch_execz .LBB5_47
; %bb.37:
	v_cmp_neq_f64_e32 vcc, 0, v[6:7]
	s_mul_i32 s6, s28, s6
	v_add_u32_e32 v0, s6, v0
	s_load_dwordx2 s[6:7], s[4:5], 0x58
	v_ashrrev_i32_e32 v1, 31, v0
	v_lshlrev_b64 v[0:1], 3, v[0:1]
	v_mov_b32_e32 v9, s27
	v_add_co_u32_e64 v0, s[4:5], s26, v0
	v_addc_co_u32_e64 v1, s[4:5], v9, v1, s[4:5]
	s_and_saveexec_b64 s[4:5], s[2:3]
	s_cbranch_execz .LBB5_42
; %bb.38:
	v_ashrrev_i32_e32 v9, 31, v10
	s_waitcnt lgkmcnt(0)
	v_mul_lo_u32 v11, s7, v10
	v_mul_lo_u32 v9, s6, v9
	s_and_saveexec_b64 s[2:3], vcc
	s_xor_b64 s[8:9], exec, s[2:3]
	s_cbranch_execz .LBB5_40
; %bb.39:
	v_mad_u64_u32 v[14:15], s[2:3], s6, v10, 0
	v_mul_f64 v[16:17], v[4:5], v[12:13]
	v_add3_u32 v15, v15, v9, v11
	v_lshlrev_b64 v[9:10], 3, v[14:15]
                                        ; implicit-def: $vgpr11
	v_add_co_u32_e64 v9, s[2:3], v0, v9
	v_addc_co_u32_e64 v10, s[2:3], v1, v10, s[2:3]
	global_load_dwordx2 v[14:15], v[9:10], off
	s_waitcnt vmcnt(0)
	v_fma_f64 v[14:15], v[6:7], v[14:15], v[16:17]
	global_store_dwordx2 v[9:10], v[14:15], off
                                        ; implicit-def: $vgpr10
                                        ; implicit-def: $vgpr9
.LBB5_40:
	s_andn2_saveexec_b64 s[2:3], s[8:9]
	s_cbranch_execz .LBB5_42
; %bb.41:
	v_mad_u64_u32 v[14:15], s[2:3], s6, v10, 0
	v_mul_f64 v[12:13], v[4:5], v[12:13]
	v_add3_u32 v15, v15, v9, v11
	v_lshlrev_b64 v[9:10], 3, v[14:15]
	v_add_co_u32_e64 v9, s[2:3], v0, v9
	v_addc_co_u32_e64 v10, s[2:3], v1, v10, s[2:3]
	global_store_dwordx2 v[9:10], v[12:13], off
.LBB5_42:
	s_or_b64 exec, exec, s[4:5]
	s_and_b64 exec, exec, s[0:1]
	s_cbranch_execz .LBB5_47
; %bb.43:
	v_ashrrev_i32_e32 v9, 31, v8
	s_waitcnt lgkmcnt(0)
	v_mul_lo_u32 v10, s7, v8
	v_mul_lo_u32 v9, s6, v9
	s_and_saveexec_b64 s[0:1], vcc
	s_xor_b64 s[0:1], exec, s[0:1]
	s_cbranch_execz .LBB5_45
; %bb.44:
	v_mad_u64_u32 v[11:12], s[2:3], s6, v8, 0
	v_mul_f64 v[2:3], v[4:5], v[2:3]
                                        ; implicit-def: $vgpr4_vgpr5
	v_add3_u32 v12, v12, v9, v10
	v_lshlrev_b64 v[8:9], 3, v[11:12]
                                        ; implicit-def: $vgpr10
	v_add_co_u32_e32 v0, vcc, v0, v8
	v_addc_co_u32_e32 v1, vcc, v1, v9, vcc
	global_load_dwordx2 v[8:9], v[0:1], off
	s_waitcnt vmcnt(0)
	v_fma_f64 v[2:3], v[6:7], v[8:9], v[2:3]
                                        ; implicit-def: $vgpr8
                                        ; implicit-def: $vgpr9
	global_store_dwordx2 v[0:1], v[2:3], off
                                        ; implicit-def: $vgpr0_vgpr1_vgpr2_vgpr3
                                        ; implicit-def: $vgpr0
                                        ; implicit-def: $vgpr1
.LBB5_45:
	s_andn2_saveexec_b64 s[0:1], s[0:1]
	s_cbranch_execz .LBB5_47
; %bb.46:
	v_mad_u64_u32 v[6:7], s[0:1], s6, v8, 0
	v_mul_f64 v[2:3], v[4:5], v[2:3]
	v_add3_u32 v7, v7, v9, v10
	v_lshlrev_b64 v[4:5], 3, v[6:7]
	v_add_co_u32_e32 v0, vcc, v0, v4
	v_addc_co_u32_e32 v1, vcc, v1, v5, vcc
	global_store_dwordx2 v[0:1], v[2:3], off
.LBB5_47:
	s_endpgm
	.section	.rodata,"a",@progbits
	.p2align	6, 0x0
	.amdhsa_kernel _ZN9rocsparseL33gebsrmm_large_blockdim_kernel_extILi32ELi32ELi2EdEEv20rocsparse_direction_20rocsparse_operation_iiNS_24const_host_device_scalarIT2_EEPKiS7_PKS4_iiS9_lS5_PS4_l21rocsparse_index_base_b
		.amdhsa_group_segment_fixed_size 24576
		.amdhsa_private_segment_fixed_size 0
		.amdhsa_kernarg_size 104
		.amdhsa_user_sgpr_count 6
		.amdhsa_user_sgpr_private_segment_buffer 1
		.amdhsa_user_sgpr_dispatch_ptr 0
		.amdhsa_user_sgpr_queue_ptr 0
		.amdhsa_user_sgpr_kernarg_segment_ptr 1
		.amdhsa_user_sgpr_dispatch_id 0
		.amdhsa_user_sgpr_flat_scratch_init 0
		.amdhsa_user_sgpr_private_segment_size 0
		.amdhsa_uses_dynamic_stack 0
		.amdhsa_system_sgpr_private_segment_wavefront_offset 0
		.amdhsa_system_sgpr_workgroup_id_x 1
		.amdhsa_system_sgpr_workgroup_id_y 1
		.amdhsa_system_sgpr_workgroup_id_z 0
		.amdhsa_system_sgpr_workgroup_info 0
		.amdhsa_system_vgpr_workitem_id 1
		.amdhsa_next_free_vgpr 30
		.amdhsa_next_free_sgpr 61
		.amdhsa_reserve_vcc 1
		.amdhsa_reserve_flat_scratch 0
		.amdhsa_float_round_mode_32 0
		.amdhsa_float_round_mode_16_64 0
		.amdhsa_float_denorm_mode_32 3
		.amdhsa_float_denorm_mode_16_64 3
		.amdhsa_dx10_clamp 1
		.amdhsa_ieee_mode 1
		.amdhsa_fp16_overflow 0
		.amdhsa_exception_fp_ieee_invalid_op 0
		.amdhsa_exception_fp_denorm_src 0
		.amdhsa_exception_fp_ieee_div_zero 0
		.amdhsa_exception_fp_ieee_overflow 0
		.amdhsa_exception_fp_ieee_underflow 0
		.amdhsa_exception_fp_ieee_inexact 0
		.amdhsa_exception_int_div_zero 0
	.end_amdhsa_kernel
	.section	.text._ZN9rocsparseL33gebsrmm_large_blockdim_kernel_extILi32ELi32ELi2EdEEv20rocsparse_direction_20rocsparse_operation_iiNS_24const_host_device_scalarIT2_EEPKiS7_PKS4_iiS9_lS5_PS4_l21rocsparse_index_base_b,"axG",@progbits,_ZN9rocsparseL33gebsrmm_large_blockdim_kernel_extILi32ELi32ELi2EdEEv20rocsparse_direction_20rocsparse_operation_iiNS_24const_host_device_scalarIT2_EEPKiS7_PKS4_iiS9_lS5_PS4_l21rocsparse_index_base_b,comdat
.Lfunc_end5:
	.size	_ZN9rocsparseL33gebsrmm_large_blockdim_kernel_extILi32ELi32ELi2EdEEv20rocsparse_direction_20rocsparse_operation_iiNS_24const_host_device_scalarIT2_EEPKiS7_PKS4_iiS9_lS5_PS4_l21rocsparse_index_base_b, .Lfunc_end5-_ZN9rocsparseL33gebsrmm_large_blockdim_kernel_extILi32ELi32ELi2EdEEv20rocsparse_direction_20rocsparse_operation_iiNS_24const_host_device_scalarIT2_EEPKiS7_PKS4_iiS9_lS5_PS4_l21rocsparse_index_base_b
                                        ; -- End function
	.set _ZN9rocsparseL33gebsrmm_large_blockdim_kernel_extILi32ELi32ELi2EdEEv20rocsparse_direction_20rocsparse_operation_iiNS_24const_host_device_scalarIT2_EEPKiS7_PKS4_iiS9_lS5_PS4_l21rocsparse_index_base_b.num_vgpr, 30
	.set _ZN9rocsparseL33gebsrmm_large_blockdim_kernel_extILi32ELi32ELi2EdEEv20rocsparse_direction_20rocsparse_operation_iiNS_24const_host_device_scalarIT2_EEPKiS7_PKS4_iiS9_lS5_PS4_l21rocsparse_index_base_b.num_agpr, 0
	.set _ZN9rocsparseL33gebsrmm_large_blockdim_kernel_extILi32ELi32ELi2EdEEv20rocsparse_direction_20rocsparse_operation_iiNS_24const_host_device_scalarIT2_EEPKiS7_PKS4_iiS9_lS5_PS4_l21rocsparse_index_base_b.numbered_sgpr, 48
	.set _ZN9rocsparseL33gebsrmm_large_blockdim_kernel_extILi32ELi32ELi2EdEEv20rocsparse_direction_20rocsparse_operation_iiNS_24const_host_device_scalarIT2_EEPKiS7_PKS4_iiS9_lS5_PS4_l21rocsparse_index_base_b.num_named_barrier, 0
	.set _ZN9rocsparseL33gebsrmm_large_blockdim_kernel_extILi32ELi32ELi2EdEEv20rocsparse_direction_20rocsparse_operation_iiNS_24const_host_device_scalarIT2_EEPKiS7_PKS4_iiS9_lS5_PS4_l21rocsparse_index_base_b.private_seg_size, 0
	.set _ZN9rocsparseL33gebsrmm_large_blockdim_kernel_extILi32ELi32ELi2EdEEv20rocsparse_direction_20rocsparse_operation_iiNS_24const_host_device_scalarIT2_EEPKiS7_PKS4_iiS9_lS5_PS4_l21rocsparse_index_base_b.uses_vcc, 1
	.set _ZN9rocsparseL33gebsrmm_large_blockdim_kernel_extILi32ELi32ELi2EdEEv20rocsparse_direction_20rocsparse_operation_iiNS_24const_host_device_scalarIT2_EEPKiS7_PKS4_iiS9_lS5_PS4_l21rocsparse_index_base_b.uses_flat_scratch, 0
	.set _ZN9rocsparseL33gebsrmm_large_blockdim_kernel_extILi32ELi32ELi2EdEEv20rocsparse_direction_20rocsparse_operation_iiNS_24const_host_device_scalarIT2_EEPKiS7_PKS4_iiS9_lS5_PS4_l21rocsparse_index_base_b.has_dyn_sized_stack, 0
	.set _ZN9rocsparseL33gebsrmm_large_blockdim_kernel_extILi32ELi32ELi2EdEEv20rocsparse_direction_20rocsparse_operation_iiNS_24const_host_device_scalarIT2_EEPKiS7_PKS4_iiS9_lS5_PS4_l21rocsparse_index_base_b.has_recursion, 0
	.set _ZN9rocsparseL33gebsrmm_large_blockdim_kernel_extILi32ELi32ELi2EdEEv20rocsparse_direction_20rocsparse_operation_iiNS_24const_host_device_scalarIT2_EEPKiS7_PKS4_iiS9_lS5_PS4_l21rocsparse_index_base_b.has_indirect_call, 0
	.section	.AMDGPU.csdata,"",@progbits
; Kernel info:
; codeLenInByte = 1576
; TotalNumSgprs: 52
; NumVgprs: 30
; ScratchSize: 0
; MemoryBound: 0
; FloatMode: 240
; IeeeMode: 1
; LDSByteSize: 24576 bytes/workgroup (compile time only)
; SGPRBlocks: 8
; VGPRBlocks: 7
; NumSGPRsForWavesPerEU: 65
; NumVGPRsForWavesPerEU: 30
; Occupancy: 8
; WaveLimiterHint : 1
; COMPUTE_PGM_RSRC2:SCRATCH_EN: 0
; COMPUTE_PGM_RSRC2:USER_SGPR: 6
; COMPUTE_PGM_RSRC2:TRAP_HANDLER: 0
; COMPUTE_PGM_RSRC2:TGID_X_EN: 1
; COMPUTE_PGM_RSRC2:TGID_Y_EN: 1
; COMPUTE_PGM_RSRC2:TGID_Z_EN: 0
; COMPUTE_PGM_RSRC2:TIDIG_COMP_CNT: 1
	.section	.text._ZN9rocsparseL33gebsrmm_large_blockdim_kernel_extILi8ELi8ELi2E21rocsparse_complex_numIfEEEv20rocsparse_direction_20rocsparse_operation_iiNS_24const_host_device_scalarIT2_EEPKiS9_PKS6_iiSB_lS7_PS6_l21rocsparse_index_base_b,"axG",@progbits,_ZN9rocsparseL33gebsrmm_large_blockdim_kernel_extILi8ELi8ELi2E21rocsparse_complex_numIfEEEv20rocsparse_direction_20rocsparse_operation_iiNS_24const_host_device_scalarIT2_EEPKiS9_PKS6_iiSB_lS7_PS6_l21rocsparse_index_base_b,comdat
	.globl	_ZN9rocsparseL33gebsrmm_large_blockdim_kernel_extILi8ELi8ELi2E21rocsparse_complex_numIfEEEv20rocsparse_direction_20rocsparse_operation_iiNS_24const_host_device_scalarIT2_EEPKiS9_PKS6_iiSB_lS7_PS6_l21rocsparse_index_base_b ; -- Begin function _ZN9rocsparseL33gebsrmm_large_blockdim_kernel_extILi8ELi8ELi2E21rocsparse_complex_numIfEEEv20rocsparse_direction_20rocsparse_operation_iiNS_24const_host_device_scalarIT2_EEPKiS9_PKS6_iiSB_lS7_PS6_l21rocsparse_index_base_b
	.p2align	8
	.type	_ZN9rocsparseL33gebsrmm_large_blockdim_kernel_extILi8ELi8ELi2E21rocsparse_complex_numIfEEEv20rocsparse_direction_20rocsparse_operation_iiNS_24const_host_device_scalarIT2_EEPKiS9_PKS6_iiSB_lS7_PS6_l21rocsparse_index_base_b,@function
_ZN9rocsparseL33gebsrmm_large_blockdim_kernel_extILi8ELi8ELi2E21rocsparse_complex_numIfEEEv20rocsparse_direction_20rocsparse_operation_iiNS_24const_host_device_scalarIT2_EEPKiS9_PKS6_iiSB_lS7_PS6_l21rocsparse_index_base_b: ; @_ZN9rocsparseL33gebsrmm_large_blockdim_kernel_extILi8ELi8ELi2E21rocsparse_complex_numIfEEEv20rocsparse_direction_20rocsparse_operation_iiNS_24const_host_device_scalarIT2_EEPKiS9_PKS6_iiSB_lS7_PS6_l21rocsparse_index_base_b
; %bb.0:
	s_load_dwordx2 s[0:1], s[4:5], 0x10
	s_load_dwordx4 s[12:15], s[4:5], 0x40
	s_load_dwordx2 s[24:25], s[4:5], 0x60
	s_add_u32 s2, s4, 16
	s_addc_u32 s3, s5, 0
	s_add_u32 s8, s4, 0x48
	s_addc_u32 s9, s5, 0
	s_waitcnt lgkmcnt(0)
	s_bitcmp1_b32 s25, 0
	s_cselect_b32 s1, s3, s1
	s_cselect_b32 s0, s2, s0
	v_mov_b32_e32 v2, s0
	v_mov_b32_e32 v3, s1
	flat_load_dwordx2 v[4:5], v[2:3]
	s_cselect_b32 s0, s9, s15
	s_cselect_b32 s1, s8, s14
	v_mov_b32_e32 v2, s1
	v_mov_b32_e32 v3, s0
	flat_load_dwordx2 v[2:3], v[2:3]
	s_waitcnt vmcnt(0) lgkmcnt(0)
	v_cmp_eq_f32_e32 vcc, 0, v4
	v_cmp_eq_f32_e64 s[0:1], 0, v5
	s_and_b64 s[8:9], vcc, s[0:1]
	s_mov_b64 s[0:1], -1
	s_and_saveexec_b64 s[2:3], s[8:9]
; %bb.1:
	v_cmp_neq_f32_e32 vcc, 1.0, v2
	v_cmp_neq_f32_e64 s[0:1], 0, v3
	s_or_b64 s[0:1], vcc, s[0:1]
	s_orn2_b64 s[0:1], s[0:1], exec
; %bb.2:
	s_or_b64 exec, exec, s[2:3]
	s_and_saveexec_b64 s[2:3], s[0:1]
	s_cbranch_execz .LBB6_44
; %bb.3:
	s_load_dwordx4 s[20:23], s[4:5], 0x0
	s_mov_b32 s25, 0
	s_waitcnt lgkmcnt(0)
	s_cmp_lt_i32 s6, s22
	s_cselect_b64 s[14:15], -1, 0
	s_cmp_ge_i32 s6, s22
	s_mov_b32 s22, 0
	s_cbranch_scc1 .LBB6_5
; %bb.4:
	s_load_dwordx2 s[2:3], s[4:5], 0x18
	s_mov_b32 s0, s7
	s_ashr_i32 s7, s6, 31
	s_lshl_b64 s[8:9], s[6:7], 2
	s_mov_b32 s7, s0
	s_waitcnt lgkmcnt(0)
	s_add_u32 s0, s2, s8
	s_addc_u32 s1, s3, s9
	s_load_dwordx2 s[2:3], s[0:1], 0x0
	s_waitcnt lgkmcnt(0)
	s_sub_i32 s22, s2, s24
	s_sub_i32 s25, s3, s24
.LBB6_5:
	s_load_dwordx2 s[26:27], s[4:5], 0x50
	s_load_dwordx2 s[28:29], s[4:5], 0x30
	v_lshl_add_u32 v8, s7, 4, v1
	v_add_u32_e32 v6, 8, v8
	v_cmp_gt_i32_e64 s[2:3], s23, v8
	v_cmp_gt_i32_e64 s[0:1], s23, v6
	s_waitcnt lgkmcnt(0)
	v_cmp_gt_i32_e64 s[8:9], s28, v0
	v_mov_b32_e32 v9, 0
	s_cmp_ge_i32 s22, s25
	v_mov_b32_e32 v22, 0
	v_mov_b32_e32 v25, 0
	;; [unrolled: 1-line block ×3, first 2 shown]
	s_cbranch_scc1 .LBB6_33
; %bb.6:
	v_cmp_gt_i32_e32 vcc, s29, v1
	s_and_b64 s[34:35], s[8:9], vcc
	s_cmpk_lg_i32 s21, 0x6f
	s_cselect_b64 s[36:37], -1, 0
	s_cmp_eq_u32 s20, 0
	v_mad_u64_u32 v[10:11], s[20:21], s28, v1, v[0:1]
	v_ashrrev_i32_e32 v9, 31, v8
	v_mul_lo_u32 v15, s13, v8
	v_mul_lo_u32 v17, s12, v9
	v_mad_u64_u32 v[11:12], s[20:21], s12, v8, 0
	v_mov_b32_e32 v7, 0x400
	v_lshl_or_b32 v16, v1, 3, v7
	v_mad_u64_u32 v[13:14], s[20:21], s29, v0, v[1:2]
	v_ashrrev_i32_e32 v7, 31, v6
	v_lshlrev_b32_e32 v26, 6, v1
	v_add3_u32 v12, v12, v17, v15
	v_mul_lo_u32 v1, s13, v6
	v_mul_lo_u32 v17, s12, v7
	v_mad_u64_u32 v[14:15], s[20:21], s12, v6, 0
	s_load_dwordx4 s[16:19], s[4:5], 0x20
	s_load_dwordx2 s[30:31], s[4:5], 0x38
	s_cselect_b64 vcc, -1, 0
	v_lshlrev_b32_e32 v18, 6, v0
	s_cmp_gt_i32 s29, 0
	v_add3_u32 v15, v15, v17, v1
	s_cselect_b64 s[38:39], -1, 0
	v_cndmask_b32_e32 v1, v10, v13, vcc
	v_lshlrev_b64 v[10:11], 3, v[11:12]
	v_lshlrev_b64 v[12:13], 3, v[14:15]
	v_add_u32_e32 v28, v16, v18
	v_lshlrev_b64 v[14:15], 3, v[8:9]
	v_lshlrev_b64 v[16:17], 3, v[6:7]
	s_mul_i32 s7, s29, s28
	v_cmp_gt_i32_e64 s[10:11], s29, v0
	v_lshlrev_b32_e32 v24, 3, v0
	s_and_b64 s[20:21], s[2:3], s[38:39]
	s_and_b64 s[38:39], s[0:1], s[38:39]
	v_add_u32_e32 v27, 0x400, v18
	v_mov_b32_e32 v23, 0
	v_mov_b32_e32 v25, 0
	;; [unrolled: 1-line block ×4, first 2 shown]
	s_branch .LBB6_9
.LBB6_7:                                ;   in Loop: Header=BB6_9 Depth=1
	s_or_b64 exec, exec, s[42:43]
.LBB6_8:                                ;   in Loop: Header=BB6_9 Depth=1
	s_or_b64 exec, exec, s[40:41]
	s_add_i32 s22, s22, 1
	s_cmp_ge_i32 s22, s25
	; wave barrier
	s_cbranch_scc1 .LBB6_33
.LBB6_9:                                ; =>This Loop Header: Depth=1
                                        ;     Child Loop BB6_29 Depth 2
                                        ;     Child Loop BB6_32 Depth 2
	s_and_saveexec_b64 s[40:41], s[10:11]
	s_cbranch_execz .LBB6_24
; %bb.10:                               ;   in Loop: Header=BB6_9 Depth=1
	s_ashr_i32 s23, s22, 31
	s_lshl_b64 s[42:43], s[22:23], 2
	s_waitcnt lgkmcnt(0)
	s_add_u32 s42, s16, s42
	s_addc_u32 s43, s17, s43
	s_load_dword s23, s[42:43], 0x0
	s_andn2_b64 vcc, exec, s[36:37]
	s_waitcnt lgkmcnt(0)
	s_sub_i32 s23, s23, s24
	s_mul_i32 s23, s23, s29
	v_add_u32_e32 v18, s23, v0
	v_ashrrev_i32_e32 v19, 31, v18
	s_cbranch_vccnz .LBB6_16
; %bb.11:                               ;   in Loop: Header=BB6_9 Depth=1
	v_mul_lo_u32 v7, s13, v18
	v_mul_lo_u32 v29, s12, v19
	v_mad_u64_u32 v[20:21], s[42:43], s12, v18, 0
	v_add3_u32 v21, v21, v29, v7
	v_lshlrev_b64 v[20:21], 3, v[20:21]
	v_mov_b32_e32 v29, s31
	v_add_co_u32_e32 v7, vcc, s30, v20
	v_addc_co_u32_e32 v29, vcc, v29, v21, vcc
	s_and_saveexec_b64 s[42:43], s[2:3]
	s_cbranch_execz .LBB6_13
; %bb.12:                               ;   in Loop: Header=BB6_9 Depth=1
	v_add_co_u32_e32 v20, vcc, v7, v14
	v_addc_co_u32_e32 v21, vcc, v29, v15, vcc
	global_load_dwordx2 v[20:21], v[20:21], off
	v_add_u32_e32 v30, v24, v26
	s_waitcnt vmcnt(0)
	ds_write_b64 v30, v[20:21]
.LBB6_13:                               ;   in Loop: Header=BB6_9 Depth=1
	s_or_b64 exec, exec, s[42:43]
	s_mov_b64 s[44:45], 0
	s_mov_b64 s[42:43], 0
                                        ; implicit-def: $vgpr20_vgpr21
	s_and_saveexec_b64 s[46:47], s[0:1]
	s_xor_b64 s[46:47], exec, s[46:47]
; %bb.14:                               ;   in Loop: Header=BB6_9 Depth=1
	v_add_co_u32_e32 v20, vcc, v7, v16
	s_mov_b64 s[42:43], exec
	v_addc_co_u32_e32 v21, vcc, v29, v17, vcc
; %bb.15:                               ;   in Loop: Header=BB6_9 Depth=1
	s_or_b64 exec, exec, s[46:47]
	s_and_b64 vcc, exec, s[44:45]
	s_cbranch_vccnz .LBB6_17
	s_branch .LBB6_22
.LBB6_16:                               ;   in Loop: Header=BB6_9 Depth=1
	s_mov_b64 s[42:43], 0
                                        ; implicit-def: $vgpr20_vgpr21
	s_cbranch_execz .LBB6_22
.LBB6_17:                               ;   in Loop: Header=BB6_9 Depth=1
	v_lshlrev_b64 v[18:19], 3, v[18:19]
	v_mov_b32_e32 v20, s31
	v_add_co_u32_e32 v7, vcc, s30, v18
	v_addc_co_u32_e32 v18, vcc, v20, v19, vcc
	s_and_saveexec_b64 s[44:45], s[2:3]
	s_cbranch_execz .LBB6_19
; %bb.18:                               ;   in Loop: Header=BB6_9 Depth=1
	v_add_co_u32_e32 v19, vcc, v7, v10
	v_addc_co_u32_e32 v20, vcc, v18, v11, vcc
	global_load_dwordx2 v[19:20], v[19:20], off
	v_add_u32_e32 v21, v24, v26
	s_waitcnt vmcnt(0)
	ds_write_b64 v21, v[19:20]
.LBB6_19:                               ;   in Loop: Header=BB6_9 Depth=1
	s_or_b64 exec, exec, s[44:45]
                                        ; implicit-def: $vgpr20_vgpr21
	s_and_saveexec_b64 s[44:45], s[0:1]
; %bb.20:                               ;   in Loop: Header=BB6_9 Depth=1
	v_add_co_u32_e32 v20, vcc, v7, v12
	v_addc_co_u32_e32 v21, vcc, v18, v13, vcc
	s_or_b64 s[42:43], s[42:43], exec
; %bb.21:                               ;   in Loop: Header=BB6_9 Depth=1
	s_or_b64 exec, exec, s[44:45]
.LBB6_22:                               ;   in Loop: Header=BB6_9 Depth=1
	s_and_b64 exec, exec, s[42:43]
	s_cbranch_execz .LBB6_24
; %bb.23:                               ;   in Loop: Header=BB6_9 Depth=1
	global_load_dwordx2 v[18:19], v[20:21], off
	v_add_u32_e32 v7, v24, v26
	s_waitcnt vmcnt(0)
	ds_write_b64 v7, v[18:19] offset:512
.LBB6_24:                               ;   in Loop: Header=BB6_9 Depth=1
	s_or_b64 exec, exec, s[40:41]
	s_and_saveexec_b64 s[40:41], s[34:35]
	s_cbranch_execz .LBB6_26
; %bb.25:                               ;   in Loop: Header=BB6_9 Depth=1
	s_mul_i32 s23, s7, s22
	v_add_u32_e32 v18, s23, v1
	v_ashrrev_i32_e32 v19, 31, v18
	v_lshlrev_b64 v[18:19], 3, v[18:19]
	s_waitcnt lgkmcnt(0)
	v_mov_b32_e32 v7, s19
	v_add_co_u32_e32 v18, vcc, s18, v18
	v_addc_co_u32_e32 v19, vcc, v7, v19, vcc
	global_load_dwordx2 v[18:19], v[18:19], off
	s_waitcnt vmcnt(0)
	ds_write_b64 v28, v[18:19]
.LBB6_26:                               ;   in Loop: Header=BB6_9 Depth=1
	s_or_b64 exec, exec, s[40:41]
	s_waitcnt lgkmcnt(0)
	; wave barrier
	s_and_saveexec_b64 s[40:41], s[8:9]
	s_cbranch_execz .LBB6_8
; %bb.27:                               ;   in Loop: Header=BB6_9 Depth=1
	s_and_saveexec_b64 s[42:43], s[20:21]
	s_cbranch_execz .LBB6_30
; %bb.28:                               ;   in Loop: Header=BB6_9 Depth=1
	v_mov_b32_e32 v7, v27
	v_mov_b32_e32 v18, v26
	s_mov_b32 s23, s29
.LBB6_29:                               ;   Parent Loop BB6_9 Depth=1
                                        ; =>  This Inner Loop Header: Depth=2
	ds_read_b64 v[19:20], v7
	ds_read_b64 v[29:30], v18
	s_add_i32 s23, s23, -1
	v_add_u32_e32 v18, 8, v18
	v_add_u32_e32 v7, 8, v7
	s_cmp_lg_u32 s23, 0
	s_waitcnt lgkmcnt(0)
	v_fmac_f32_e32 v23, v19, v29
	v_fmac_f32_e32 v25, v20, v29
	v_fma_f32 v23, -v20, v30, v23
	v_fmac_f32_e32 v25, v19, v30
	s_cbranch_scc1 .LBB6_29
.LBB6_30:                               ;   in Loop: Header=BB6_9 Depth=1
	s_or_b64 exec, exec, s[42:43]
	s_and_saveexec_b64 s[42:43], s[38:39]
	s_cbranch_execz .LBB6_7
; %bb.31:                               ;   in Loop: Header=BB6_9 Depth=1
	v_mov_b32_e32 v7, v27
	s_mov_b32 s23, s29
	v_add_u32_e32 v18, 0x200, v26
.LBB6_32:                               ;   Parent Loop BB6_9 Depth=1
                                        ; =>  This Inner Loop Header: Depth=2
	ds_read_b64 v[19:20], v7
	ds_read_b64 v[29:30], v18
	s_add_i32 s23, s23, -1
	v_add_u32_e32 v18, 8, v18
	v_add_u32_e32 v7, 8, v7
	s_cmp_lg_u32 s23, 0
	s_waitcnt lgkmcnt(0)
	v_fmac_f32_e32 v22, v19, v29
	v_fmac_f32_e32 v9, v20, v29
	v_fma_f32 v22, -v20, v30, v22
	v_fmac_f32_e32 v9, v19, v30
	s_cbranch_scc1 .LBB6_32
	s_branch .LBB6_7
.LBB6_33:
	s_and_b64 s[8:9], s[14:15], s[8:9]
	s_and_b64 exec, exec, s[8:9]
	s_cbranch_execz .LBB6_44
; %bb.34:
	s_mul_i32 s6, s28, s6
	v_add_u32_e32 v0, s6, v0
	s_load_dwordx2 s[6:7], s[4:5], 0x58
	v_ashrrev_i32_e32 v1, 31, v0
	v_lshlrev_b64 v[0:1], 3, v[0:1]
	v_cmp_neq_f32_e32 vcc, 0, v2
	v_cmp_neq_f32_e64 s[4:5], 0, v3
	s_or_b64 s[4:5], vcc, s[4:5]
	v_mov_b32_e32 v10, s27
	v_add_co_u32_e32 v7, vcc, s26, v0
	v_addc_co_u32_e32 v10, vcc, v10, v1, vcc
	s_and_saveexec_b64 s[8:9], s[2:3]
	s_cbranch_execz .LBB6_39
; %bb.35:
	v_ashrrev_i32_e32 v1, 31, v8
	s_waitcnt lgkmcnt(0)
	v_mul_lo_u32 v12, s7, v8
	v_mul_lo_u32 v11, s6, v1
	v_mul_f32_e64 v0, v25, -v5
	v_mul_f32_e32 v1, v4, v25
	v_fmac_f32_e32 v0, v4, v23
	v_fmac_f32_e32 v1, v5, v23
	s_and_saveexec_b64 s[2:3], s[4:5]
	s_xor_b64 s[2:3], exec, s[2:3]
	s_cbranch_execz .LBB6_37
; %bb.36:
	v_mad_u64_u32 v[13:14], s[10:11], s6, v8, 0
                                        ; implicit-def: $vgpr8
	v_add3_u32 v14, v14, v11, v12
	v_lshlrev_b64 v[11:12], 3, v[13:14]
	v_add_co_u32_e32 v11, vcc, v7, v11
	v_addc_co_u32_e32 v12, vcc, v10, v12, vcc
	global_load_dwordx2 v[13:14], v[11:12], off
	s_waitcnt vmcnt(0)
	v_fmac_f32_e32 v0, v2, v13
	v_fmac_f32_e32 v1, v3, v13
	v_fma_f32 v0, -v3, v14, v0
	v_fmac_f32_e32 v1, v2, v14
	global_store_dwordx2 v[11:12], v[0:1], off
                                        ; implicit-def: $vgpr11
                                        ; implicit-def: $vgpr12
                                        ; implicit-def: $vgpr0
.LBB6_37:
	s_andn2_saveexec_b64 s[2:3], s[2:3]
	s_cbranch_execz .LBB6_39
; %bb.38:
	v_mad_u64_u32 v[13:14], s[2:3], s6, v8, 0
	v_add3_u32 v14, v14, v11, v12
	v_lshlrev_b64 v[11:12], 3, v[13:14]
	v_add_co_u32_e32 v11, vcc, v7, v11
	v_addc_co_u32_e32 v12, vcc, v10, v12, vcc
	global_store_dwordx2 v[11:12], v[0:1], off
.LBB6_39:
	s_or_b64 exec, exec, s[8:9]
	s_and_b64 exec, exec, s[0:1]
	s_cbranch_execz .LBB6_44
; %bb.40:
	v_ashrrev_i32_e32 v1, 31, v6
	s_waitcnt lgkmcnt(0)
	v_mul_lo_u32 v11, s7, v6
	v_mul_lo_u32 v8, s6, v1
	v_mul_f32_e64 v0, v9, -v5
	v_mul_f32_e32 v1, v4, v9
	v_fmac_f32_e32 v0, v4, v22
	v_fmac_f32_e32 v1, v5, v22
	s_and_saveexec_b64 s[0:1], s[4:5]
	s_xor_b64 s[0:1], exec, s[0:1]
	s_cbranch_execz .LBB6_42
; %bb.41:
	v_mad_u64_u32 v[4:5], s[2:3], s6, v6, 0
	v_add3_u32 v5, v5, v8, v11
	v_lshlrev_b64 v[4:5], 3, v[4:5]
                                        ; implicit-def: $vgpr8
                                        ; implicit-def: $vgpr11
	v_add_co_u32_e32 v4, vcc, v7, v4
	v_addc_co_u32_e32 v5, vcc, v10, v5, vcc
	global_load_dwordx2 v[6:7], v[4:5], off
                                        ; implicit-def: $vgpr10
	s_waitcnt vmcnt(0)
	v_fmac_f32_e32 v0, v2, v6
	v_fmac_f32_e32 v1, v3, v6
	v_fma_f32 v0, -v3, v7, v0
	v_fmac_f32_e32 v1, v2, v7
	global_store_dwordx2 v[4:5], v[0:1], off
                                        ; implicit-def: $vgpr6
                                        ; implicit-def: $vgpr7
                                        ; implicit-def: $vgpr0
.LBB6_42:
	s_andn2_saveexec_b64 s[0:1], s[0:1]
	s_cbranch_execz .LBB6_44
; %bb.43:
	v_mad_u64_u32 v[2:3], s[0:1], s6, v6, 0
	v_add3_u32 v3, v3, v8, v11
	v_lshlrev_b64 v[2:3], 3, v[2:3]
	v_add_co_u32_e32 v2, vcc, v7, v2
	v_addc_co_u32_e32 v3, vcc, v10, v3, vcc
	global_store_dwordx2 v[2:3], v[0:1], off
.LBB6_44:
	s_endpgm
	.section	.rodata,"a",@progbits
	.p2align	6, 0x0
	.amdhsa_kernel _ZN9rocsparseL33gebsrmm_large_blockdim_kernel_extILi8ELi8ELi2E21rocsparse_complex_numIfEEEv20rocsparse_direction_20rocsparse_operation_iiNS_24const_host_device_scalarIT2_EEPKiS9_PKS6_iiSB_lS7_PS6_l21rocsparse_index_base_b
		.amdhsa_group_segment_fixed_size 1536
		.amdhsa_private_segment_fixed_size 0
		.amdhsa_kernarg_size 104
		.amdhsa_user_sgpr_count 6
		.amdhsa_user_sgpr_private_segment_buffer 1
		.amdhsa_user_sgpr_dispatch_ptr 0
		.amdhsa_user_sgpr_queue_ptr 0
		.amdhsa_user_sgpr_kernarg_segment_ptr 1
		.amdhsa_user_sgpr_dispatch_id 0
		.amdhsa_user_sgpr_flat_scratch_init 0
		.amdhsa_user_sgpr_private_segment_size 0
		.amdhsa_uses_dynamic_stack 0
		.amdhsa_system_sgpr_private_segment_wavefront_offset 0
		.amdhsa_system_sgpr_workgroup_id_x 1
		.amdhsa_system_sgpr_workgroup_id_y 1
		.amdhsa_system_sgpr_workgroup_id_z 0
		.amdhsa_system_sgpr_workgroup_info 0
		.amdhsa_system_vgpr_workitem_id 1
		.amdhsa_next_free_vgpr 31
		.amdhsa_next_free_sgpr 48
		.amdhsa_reserve_vcc 1
		.amdhsa_reserve_flat_scratch 0
		.amdhsa_float_round_mode_32 0
		.amdhsa_float_round_mode_16_64 0
		.amdhsa_float_denorm_mode_32 3
		.amdhsa_float_denorm_mode_16_64 3
		.amdhsa_dx10_clamp 1
		.amdhsa_ieee_mode 1
		.amdhsa_fp16_overflow 0
		.amdhsa_exception_fp_ieee_invalid_op 0
		.amdhsa_exception_fp_denorm_src 0
		.amdhsa_exception_fp_ieee_div_zero 0
		.amdhsa_exception_fp_ieee_overflow 0
		.amdhsa_exception_fp_ieee_underflow 0
		.amdhsa_exception_fp_ieee_inexact 0
		.amdhsa_exception_int_div_zero 0
	.end_amdhsa_kernel
	.section	.text._ZN9rocsparseL33gebsrmm_large_blockdim_kernel_extILi8ELi8ELi2E21rocsparse_complex_numIfEEEv20rocsparse_direction_20rocsparse_operation_iiNS_24const_host_device_scalarIT2_EEPKiS9_PKS6_iiSB_lS7_PS6_l21rocsparse_index_base_b,"axG",@progbits,_ZN9rocsparseL33gebsrmm_large_blockdim_kernel_extILi8ELi8ELi2E21rocsparse_complex_numIfEEEv20rocsparse_direction_20rocsparse_operation_iiNS_24const_host_device_scalarIT2_EEPKiS9_PKS6_iiSB_lS7_PS6_l21rocsparse_index_base_b,comdat
.Lfunc_end6:
	.size	_ZN9rocsparseL33gebsrmm_large_blockdim_kernel_extILi8ELi8ELi2E21rocsparse_complex_numIfEEEv20rocsparse_direction_20rocsparse_operation_iiNS_24const_host_device_scalarIT2_EEPKiS9_PKS6_iiSB_lS7_PS6_l21rocsparse_index_base_b, .Lfunc_end6-_ZN9rocsparseL33gebsrmm_large_blockdim_kernel_extILi8ELi8ELi2E21rocsparse_complex_numIfEEEv20rocsparse_direction_20rocsparse_operation_iiNS_24const_host_device_scalarIT2_EEPKiS9_PKS6_iiSB_lS7_PS6_l21rocsparse_index_base_b
                                        ; -- End function
	.set _ZN9rocsparseL33gebsrmm_large_blockdim_kernel_extILi8ELi8ELi2E21rocsparse_complex_numIfEEEv20rocsparse_direction_20rocsparse_operation_iiNS_24const_host_device_scalarIT2_EEPKiS9_PKS6_iiSB_lS7_PS6_l21rocsparse_index_base_b.num_vgpr, 31
	.set _ZN9rocsparseL33gebsrmm_large_blockdim_kernel_extILi8ELi8ELi2E21rocsparse_complex_numIfEEEv20rocsparse_direction_20rocsparse_operation_iiNS_24const_host_device_scalarIT2_EEPKiS9_PKS6_iiSB_lS7_PS6_l21rocsparse_index_base_b.num_agpr, 0
	.set _ZN9rocsparseL33gebsrmm_large_blockdim_kernel_extILi8ELi8ELi2E21rocsparse_complex_numIfEEEv20rocsparse_direction_20rocsparse_operation_iiNS_24const_host_device_scalarIT2_EEPKiS9_PKS6_iiSB_lS7_PS6_l21rocsparse_index_base_b.numbered_sgpr, 48
	.set _ZN9rocsparseL33gebsrmm_large_blockdim_kernel_extILi8ELi8ELi2E21rocsparse_complex_numIfEEEv20rocsparse_direction_20rocsparse_operation_iiNS_24const_host_device_scalarIT2_EEPKiS9_PKS6_iiSB_lS7_PS6_l21rocsparse_index_base_b.num_named_barrier, 0
	.set _ZN9rocsparseL33gebsrmm_large_blockdim_kernel_extILi8ELi8ELi2E21rocsparse_complex_numIfEEEv20rocsparse_direction_20rocsparse_operation_iiNS_24const_host_device_scalarIT2_EEPKiS9_PKS6_iiSB_lS7_PS6_l21rocsparse_index_base_b.private_seg_size, 0
	.set _ZN9rocsparseL33gebsrmm_large_blockdim_kernel_extILi8ELi8ELi2E21rocsparse_complex_numIfEEEv20rocsparse_direction_20rocsparse_operation_iiNS_24const_host_device_scalarIT2_EEPKiS9_PKS6_iiSB_lS7_PS6_l21rocsparse_index_base_b.uses_vcc, 1
	.set _ZN9rocsparseL33gebsrmm_large_blockdim_kernel_extILi8ELi8ELi2E21rocsparse_complex_numIfEEEv20rocsparse_direction_20rocsparse_operation_iiNS_24const_host_device_scalarIT2_EEPKiS9_PKS6_iiSB_lS7_PS6_l21rocsparse_index_base_b.uses_flat_scratch, 0
	.set _ZN9rocsparseL33gebsrmm_large_blockdim_kernel_extILi8ELi8ELi2E21rocsparse_complex_numIfEEEv20rocsparse_direction_20rocsparse_operation_iiNS_24const_host_device_scalarIT2_EEPKiS9_PKS6_iiSB_lS7_PS6_l21rocsparse_index_base_b.has_dyn_sized_stack, 0
	.set _ZN9rocsparseL33gebsrmm_large_blockdim_kernel_extILi8ELi8ELi2E21rocsparse_complex_numIfEEEv20rocsparse_direction_20rocsparse_operation_iiNS_24const_host_device_scalarIT2_EEPKiS9_PKS6_iiSB_lS7_PS6_l21rocsparse_index_base_b.has_recursion, 0
	.set _ZN9rocsparseL33gebsrmm_large_blockdim_kernel_extILi8ELi8ELi2E21rocsparse_complex_numIfEEEv20rocsparse_direction_20rocsparse_operation_iiNS_24const_host_device_scalarIT2_EEPKiS9_PKS6_iiSB_lS7_PS6_l21rocsparse_index_base_b.has_indirect_call, 0
	.section	.AMDGPU.csdata,"",@progbits
; Kernel info:
; codeLenInByte = 1632
; TotalNumSgprs: 52
; NumVgprs: 31
; ScratchSize: 0
; MemoryBound: 0
; FloatMode: 240
; IeeeMode: 1
; LDSByteSize: 1536 bytes/workgroup (compile time only)
; SGPRBlocks: 6
; VGPRBlocks: 7
; NumSGPRsForWavesPerEU: 52
; NumVGPRsForWavesPerEU: 31
; Occupancy: 8
; WaveLimiterHint : 1
; COMPUTE_PGM_RSRC2:SCRATCH_EN: 0
; COMPUTE_PGM_RSRC2:USER_SGPR: 6
; COMPUTE_PGM_RSRC2:TRAP_HANDLER: 0
; COMPUTE_PGM_RSRC2:TGID_X_EN: 1
; COMPUTE_PGM_RSRC2:TGID_Y_EN: 1
; COMPUTE_PGM_RSRC2:TGID_Z_EN: 0
; COMPUTE_PGM_RSRC2:TIDIG_COMP_CNT: 1
	.section	.text._ZN9rocsparseL33gebsrmm_large_blockdim_kernel_extILi16ELi16ELi2E21rocsparse_complex_numIfEEEv20rocsparse_direction_20rocsparse_operation_iiNS_24const_host_device_scalarIT2_EEPKiS9_PKS6_iiSB_lS7_PS6_l21rocsparse_index_base_b,"axG",@progbits,_ZN9rocsparseL33gebsrmm_large_blockdim_kernel_extILi16ELi16ELi2E21rocsparse_complex_numIfEEEv20rocsparse_direction_20rocsparse_operation_iiNS_24const_host_device_scalarIT2_EEPKiS9_PKS6_iiSB_lS7_PS6_l21rocsparse_index_base_b,comdat
	.globl	_ZN9rocsparseL33gebsrmm_large_blockdim_kernel_extILi16ELi16ELi2E21rocsparse_complex_numIfEEEv20rocsparse_direction_20rocsparse_operation_iiNS_24const_host_device_scalarIT2_EEPKiS9_PKS6_iiSB_lS7_PS6_l21rocsparse_index_base_b ; -- Begin function _ZN9rocsparseL33gebsrmm_large_blockdim_kernel_extILi16ELi16ELi2E21rocsparse_complex_numIfEEEv20rocsparse_direction_20rocsparse_operation_iiNS_24const_host_device_scalarIT2_EEPKiS9_PKS6_iiSB_lS7_PS6_l21rocsparse_index_base_b
	.p2align	8
	.type	_ZN9rocsparseL33gebsrmm_large_blockdim_kernel_extILi16ELi16ELi2E21rocsparse_complex_numIfEEEv20rocsparse_direction_20rocsparse_operation_iiNS_24const_host_device_scalarIT2_EEPKiS9_PKS6_iiSB_lS7_PS6_l21rocsparse_index_base_b,@function
_ZN9rocsparseL33gebsrmm_large_blockdim_kernel_extILi16ELi16ELi2E21rocsparse_complex_numIfEEEv20rocsparse_direction_20rocsparse_operation_iiNS_24const_host_device_scalarIT2_EEPKiS9_PKS6_iiSB_lS7_PS6_l21rocsparse_index_base_b: ; @_ZN9rocsparseL33gebsrmm_large_blockdim_kernel_extILi16ELi16ELi2E21rocsparse_complex_numIfEEEv20rocsparse_direction_20rocsparse_operation_iiNS_24const_host_device_scalarIT2_EEPKiS9_PKS6_iiSB_lS7_PS6_l21rocsparse_index_base_b
; %bb.0:
	s_load_dwordx2 s[0:1], s[4:5], 0x10
	s_load_dwordx4 s[16:19], s[4:5], 0x40
	s_load_dwordx2 s[24:25], s[4:5], 0x60
	s_add_u32 s2, s4, 16
	s_addc_u32 s3, s5, 0
	s_add_u32 s8, s4, 0x48
	s_addc_u32 s9, s5, 0
	s_waitcnt lgkmcnt(0)
	s_bitcmp1_b32 s25, 0
	s_cselect_b32 s1, s3, s1
	s_cselect_b32 s0, s2, s0
	v_mov_b32_e32 v2, s0
	v_mov_b32_e32 v3, s1
	flat_load_dwordx2 v[4:5], v[2:3]
	s_cselect_b32 s0, s9, s19
	s_cselect_b32 s1, s8, s18
	v_mov_b32_e32 v2, s1
	v_mov_b32_e32 v3, s0
	flat_load_dwordx2 v[2:3], v[2:3]
	s_waitcnt vmcnt(0) lgkmcnt(0)
	v_cmp_eq_f32_e32 vcc, 0, v4
	v_cmp_eq_f32_e64 s[0:1], 0, v5
	s_and_b64 s[8:9], vcc, s[0:1]
	s_mov_b64 s[0:1], -1
	s_and_saveexec_b64 s[2:3], s[8:9]
; %bb.1:
	v_cmp_neq_f32_e32 vcc, 1.0, v2
	v_cmp_neq_f32_e64 s[0:1], 0, v3
	s_or_b64 s[0:1], vcc, s[0:1]
	s_orn2_b64 s[0:1], s[0:1], exec
; %bb.2:
	s_or_b64 exec, exec, s[2:3]
	s_and_saveexec_b64 s[2:3], s[0:1]
	s_cbranch_execz .LBB7_44
; %bb.3:
	s_load_dwordx4 s[12:15], s[4:5], 0x0
	s_mov_b32 s25, 0
	s_waitcnt lgkmcnt(0)
	s_cmp_lt_i32 s6, s14
	s_cselect_b64 s[18:19], -1, 0
	s_cmp_ge_i32 s6, s14
	s_mov_b32 s14, 0
	s_cbranch_scc1 .LBB7_5
; %bb.4:
	s_load_dwordx2 s[2:3], s[4:5], 0x18
	s_mov_b32 s0, s7
	s_ashr_i32 s7, s6, 31
	s_lshl_b64 s[8:9], s[6:7], 2
	s_mov_b32 s7, s0
	s_waitcnt lgkmcnt(0)
	s_add_u32 s0, s2, s8
	s_addc_u32 s1, s3, s9
	s_load_dwordx2 s[2:3], s[0:1], 0x0
	s_waitcnt lgkmcnt(0)
	s_sub_i32 s14, s2, s24
	s_sub_i32 s25, s3, s24
.LBB7_5:
	s_load_dwordx2 s[26:27], s[4:5], 0x50
	s_load_dwordx2 s[28:29], s[4:5], 0x30
	v_lshl_add_u32 v8, s7, 5, v1
	v_add_u32_e32 v6, 16, v8
	v_cmp_gt_i32_e64 s[2:3], s15, v8
	v_cmp_gt_i32_e64 s[0:1], s15, v6
	s_waitcnt lgkmcnt(0)
	v_cmp_gt_i32_e64 s[8:9], s28, v0
	v_mov_b32_e32 v9, 0
	s_cmp_ge_i32 s14, s25
	v_mov_b32_e32 v22, 0
	v_mov_b32_e32 v25, 0
	;; [unrolled: 1-line block ×3, first 2 shown]
	s_cbranch_scc1 .LBB7_33
; %bb.6:
	v_cmp_gt_i32_e32 vcc, s29, v1
	s_and_b64 s[34:35], s[8:9], vcc
	s_cmpk_lg_i32 s13, 0x6f
	s_cselect_b64 s[40:41], -1, 0
	s_cmp_eq_u32 s12, 0
	v_mad_u64_u32 v[10:11], s[12:13], s28, v1, v[0:1]
	v_ashrrev_i32_e32 v9, 31, v8
	v_mul_lo_u32 v15, s17, v8
	v_mul_lo_u32 v18, s16, v9
	v_mad_u64_u32 v[11:12], s[12:13], s16, v8, 0
	v_mov_b32_e32 v7, 0x1000
	v_lshl_or_b32 v16, v1, 3, v7
	v_mad_u64_u32 v[13:14], s[12:13], s29, v0, v[1:2]
	v_ashrrev_i32_e32 v7, 31, v6
	v_lshlrev_b32_e32 v24, 7, v1
	v_add3_u32 v12, v12, v18, v15
	v_mul_lo_u32 v1, s17, v6
	v_mul_lo_u32 v18, s16, v7
	v_mad_u64_u32 v[14:15], s[12:13], s16, v6, 0
	s_load_dwordx4 s[20:23], s[4:5], 0x20
	s_load_dwordx2 s[30:31], s[4:5], 0x38
	s_cselect_b64 vcc, -1, 0
	s_cmp_gt_i32 s29, 0
	v_lshlrev_b32_e32 v17, 3, v0
	v_lshlrev_b32_e32 v19, 7, v0
	s_cselect_b64 s[12:13], -1, 0
	v_add3_u32 v15, v15, v18, v1
	v_cndmask_b32_e32 v1, v10, v13, vcc
	v_cndmask_b32_e64 v10, 0, 1, s[40:41]
	s_and_b64 s[36:37], s[2:3], s[12:13]
	s_and_b64 s[38:39], s[0:1], s[12:13]
	v_cmp_ne_u32_e64 s[12:13], 1, v10
	v_add_u32_e32 v27, v17, v24
	v_lshlrev_b64 v[10:11], 3, v[11:12]
	v_lshlrev_b64 v[12:13], 3, v[14:15]
	v_add_u32_e32 v28, v16, v19
	v_lshlrev_b64 v[14:15], 3, v[8:9]
	v_lshlrev_b64 v[16:17], 3, v[6:7]
	s_mul_i32 s7, s29, s28
	v_cmp_gt_i32_e64 s[10:11], s29, v0
	v_add_u32_e32 v26, 0x1000, v19
	v_mov_b32_e32 v23, 0
	v_mov_b32_e32 v25, 0
	;; [unrolled: 1-line block ×4, first 2 shown]
	s_branch .LBB7_9
.LBB7_7:                                ;   in Loop: Header=BB7_9 Depth=1
	s_or_b64 exec, exec, s[42:43]
.LBB7_8:                                ;   in Loop: Header=BB7_9 Depth=1
	s_or_b64 exec, exec, s[40:41]
	s_add_i32 s14, s14, 1
	s_cmp_ge_i32 s14, s25
	s_barrier
	s_cbranch_scc1 .LBB7_33
.LBB7_9:                                ; =>This Loop Header: Depth=1
                                        ;     Child Loop BB7_29 Depth 2
                                        ;     Child Loop BB7_32 Depth 2
	s_and_saveexec_b64 s[40:41], s[10:11]
	s_cbranch_execz .LBB7_24
; %bb.10:                               ;   in Loop: Header=BB7_9 Depth=1
	s_ashr_i32 s15, s14, 31
	s_lshl_b64 s[42:43], s[14:15], 2
	s_waitcnt lgkmcnt(0)
	s_add_u32 s42, s20, s42
	s_addc_u32 s43, s21, s43
	s_load_dword s15, s[42:43], 0x0
	s_and_b64 vcc, exec, s[12:13]
	s_waitcnt lgkmcnt(0)
	s_sub_i32 s15, s15, s24
	s_mul_i32 s15, s15, s29
	v_add_u32_e32 v18, s15, v0
	v_ashrrev_i32_e32 v19, 31, v18
	s_cbranch_vccnz .LBB7_16
; %bb.11:                               ;   in Loop: Header=BB7_9 Depth=1
	v_mul_lo_u32 v7, s17, v18
	v_mul_lo_u32 v29, s16, v19
	v_mad_u64_u32 v[20:21], s[42:43], s16, v18, 0
	v_add3_u32 v21, v21, v29, v7
	v_lshlrev_b64 v[20:21], 3, v[20:21]
	v_mov_b32_e32 v29, s31
	v_add_co_u32_e32 v7, vcc, s30, v20
	v_addc_co_u32_e32 v29, vcc, v29, v21, vcc
	s_and_saveexec_b64 s[42:43], s[2:3]
	s_cbranch_execz .LBB7_13
; %bb.12:                               ;   in Loop: Header=BB7_9 Depth=1
	v_add_co_u32_e32 v20, vcc, v7, v14
	v_addc_co_u32_e32 v21, vcc, v29, v15, vcc
	global_load_dwordx2 v[20:21], v[20:21], off
	s_waitcnt vmcnt(0)
	ds_write_b64 v27, v[20:21]
.LBB7_13:                               ;   in Loop: Header=BB7_9 Depth=1
	s_or_b64 exec, exec, s[42:43]
	s_mov_b64 s[44:45], 0
	s_mov_b64 s[42:43], 0
                                        ; implicit-def: $vgpr20_vgpr21
	s_and_saveexec_b64 s[46:47], s[0:1]
	s_xor_b64 s[46:47], exec, s[46:47]
; %bb.14:                               ;   in Loop: Header=BB7_9 Depth=1
	v_add_co_u32_e32 v20, vcc, v7, v16
	s_mov_b64 s[42:43], exec
	v_addc_co_u32_e32 v21, vcc, v29, v17, vcc
; %bb.15:                               ;   in Loop: Header=BB7_9 Depth=1
	s_or_b64 exec, exec, s[46:47]
	s_and_b64 vcc, exec, s[44:45]
	s_cbranch_vccnz .LBB7_17
	s_branch .LBB7_22
.LBB7_16:                               ;   in Loop: Header=BB7_9 Depth=1
	s_mov_b64 s[42:43], 0
                                        ; implicit-def: $vgpr20_vgpr21
	s_cbranch_execz .LBB7_22
.LBB7_17:                               ;   in Loop: Header=BB7_9 Depth=1
	v_lshlrev_b64 v[18:19], 3, v[18:19]
	v_mov_b32_e32 v20, s31
	v_add_co_u32_e32 v7, vcc, s30, v18
	v_addc_co_u32_e32 v18, vcc, v20, v19, vcc
	s_and_saveexec_b64 s[44:45], s[2:3]
	s_cbranch_execz .LBB7_19
; %bb.18:                               ;   in Loop: Header=BB7_9 Depth=1
	v_add_co_u32_e32 v19, vcc, v7, v10
	v_addc_co_u32_e32 v20, vcc, v18, v11, vcc
	global_load_dwordx2 v[19:20], v[19:20], off
	s_waitcnt vmcnt(0)
	ds_write_b64 v27, v[19:20]
.LBB7_19:                               ;   in Loop: Header=BB7_9 Depth=1
	s_or_b64 exec, exec, s[44:45]
                                        ; implicit-def: $vgpr20_vgpr21
	s_and_saveexec_b64 s[44:45], s[0:1]
; %bb.20:                               ;   in Loop: Header=BB7_9 Depth=1
	v_add_co_u32_e32 v20, vcc, v7, v12
	v_addc_co_u32_e32 v21, vcc, v18, v13, vcc
	s_or_b64 s[42:43], s[42:43], exec
; %bb.21:                               ;   in Loop: Header=BB7_9 Depth=1
	s_or_b64 exec, exec, s[44:45]
.LBB7_22:                               ;   in Loop: Header=BB7_9 Depth=1
	s_and_b64 exec, exec, s[42:43]
	s_cbranch_execz .LBB7_24
; %bb.23:                               ;   in Loop: Header=BB7_9 Depth=1
	global_load_dwordx2 v[18:19], v[20:21], off
	s_waitcnt vmcnt(0)
	ds_write_b64 v27, v[18:19] offset:2048
.LBB7_24:                               ;   in Loop: Header=BB7_9 Depth=1
	s_or_b64 exec, exec, s[40:41]
	s_and_saveexec_b64 s[40:41], s[34:35]
	s_cbranch_execz .LBB7_26
; %bb.25:                               ;   in Loop: Header=BB7_9 Depth=1
	s_mul_i32 s15, s7, s14
	v_add_u32_e32 v18, s15, v1
	v_ashrrev_i32_e32 v19, 31, v18
	v_lshlrev_b64 v[18:19], 3, v[18:19]
	s_waitcnt lgkmcnt(0)
	v_mov_b32_e32 v7, s23
	v_add_co_u32_e32 v18, vcc, s22, v18
	v_addc_co_u32_e32 v19, vcc, v7, v19, vcc
	global_load_dwordx2 v[18:19], v[18:19], off
	s_waitcnt vmcnt(0)
	ds_write_b64 v28, v[18:19]
.LBB7_26:                               ;   in Loop: Header=BB7_9 Depth=1
	s_or_b64 exec, exec, s[40:41]
	s_waitcnt lgkmcnt(0)
	s_barrier
	s_and_saveexec_b64 s[40:41], s[8:9]
	s_cbranch_execz .LBB7_8
; %bb.27:                               ;   in Loop: Header=BB7_9 Depth=1
	s_and_saveexec_b64 s[42:43], s[36:37]
	s_cbranch_execz .LBB7_30
; %bb.28:                               ;   in Loop: Header=BB7_9 Depth=1
	v_mov_b32_e32 v7, v26
	v_mov_b32_e32 v18, v24
	s_mov_b32 s15, s29
.LBB7_29:                               ;   Parent Loop BB7_9 Depth=1
                                        ; =>  This Inner Loop Header: Depth=2
	ds_read_b64 v[19:20], v7
	ds_read_b64 v[29:30], v18
	s_add_i32 s15, s15, -1
	v_add_u32_e32 v18, 8, v18
	v_add_u32_e32 v7, 8, v7
	s_cmp_lg_u32 s15, 0
	s_waitcnt lgkmcnt(0)
	v_fmac_f32_e32 v23, v19, v29
	v_fmac_f32_e32 v25, v20, v29
	v_fma_f32 v23, -v20, v30, v23
	v_fmac_f32_e32 v25, v19, v30
	s_cbranch_scc1 .LBB7_29
.LBB7_30:                               ;   in Loop: Header=BB7_9 Depth=1
	s_or_b64 exec, exec, s[42:43]
	s_and_saveexec_b64 s[42:43], s[38:39]
	s_cbranch_execz .LBB7_7
; %bb.31:                               ;   in Loop: Header=BB7_9 Depth=1
	v_mov_b32_e32 v7, v26
	s_mov_b32 s15, s29
	v_add_u32_e32 v18, 0x800, v24
.LBB7_32:                               ;   Parent Loop BB7_9 Depth=1
                                        ; =>  This Inner Loop Header: Depth=2
	ds_read_b64 v[19:20], v7
	ds_read_b64 v[29:30], v18
	s_add_i32 s15, s15, -1
	v_add_u32_e32 v18, 8, v18
	v_add_u32_e32 v7, 8, v7
	s_cmp_lg_u32 s15, 0
	s_waitcnt lgkmcnt(0)
	v_fmac_f32_e32 v22, v19, v29
	v_fmac_f32_e32 v9, v20, v29
	v_fma_f32 v22, -v20, v30, v22
	v_fmac_f32_e32 v9, v19, v30
	s_cbranch_scc1 .LBB7_32
	s_branch .LBB7_7
.LBB7_33:
	s_and_b64 s[8:9], s[18:19], s[8:9]
	s_and_b64 exec, exec, s[8:9]
	s_cbranch_execz .LBB7_44
; %bb.34:
	s_mul_i32 s6, s28, s6
	v_add_u32_e32 v0, s6, v0
	s_load_dwordx2 s[6:7], s[4:5], 0x58
	v_ashrrev_i32_e32 v1, 31, v0
	v_lshlrev_b64 v[0:1], 3, v[0:1]
	v_cmp_neq_f32_e32 vcc, 0, v2
	v_cmp_neq_f32_e64 s[4:5], 0, v3
	s_or_b64 s[4:5], vcc, s[4:5]
	v_mov_b32_e32 v10, s27
	v_add_co_u32_e32 v7, vcc, s26, v0
	v_addc_co_u32_e32 v10, vcc, v10, v1, vcc
	s_and_saveexec_b64 s[8:9], s[2:3]
	s_cbranch_execz .LBB7_39
; %bb.35:
	v_ashrrev_i32_e32 v1, 31, v8
	s_waitcnt lgkmcnt(0)
	v_mul_lo_u32 v12, s7, v8
	v_mul_lo_u32 v11, s6, v1
	v_mul_f32_e64 v0, v25, -v5
	v_mul_f32_e32 v1, v4, v25
	v_fmac_f32_e32 v0, v4, v23
	v_fmac_f32_e32 v1, v5, v23
	s_and_saveexec_b64 s[2:3], s[4:5]
	s_xor_b64 s[2:3], exec, s[2:3]
	s_cbranch_execz .LBB7_37
; %bb.36:
	v_mad_u64_u32 v[13:14], s[10:11], s6, v8, 0
                                        ; implicit-def: $vgpr8
	v_add3_u32 v14, v14, v11, v12
	v_lshlrev_b64 v[11:12], 3, v[13:14]
	v_add_co_u32_e32 v11, vcc, v7, v11
	v_addc_co_u32_e32 v12, vcc, v10, v12, vcc
	global_load_dwordx2 v[13:14], v[11:12], off
	s_waitcnt vmcnt(0)
	v_fmac_f32_e32 v0, v2, v13
	v_fmac_f32_e32 v1, v3, v13
	v_fma_f32 v0, -v3, v14, v0
	v_fmac_f32_e32 v1, v2, v14
	global_store_dwordx2 v[11:12], v[0:1], off
                                        ; implicit-def: $vgpr11
                                        ; implicit-def: $vgpr12
                                        ; implicit-def: $vgpr0
.LBB7_37:
	s_andn2_saveexec_b64 s[2:3], s[2:3]
	s_cbranch_execz .LBB7_39
; %bb.38:
	v_mad_u64_u32 v[13:14], s[2:3], s6, v8, 0
	v_add3_u32 v14, v14, v11, v12
	v_lshlrev_b64 v[11:12], 3, v[13:14]
	v_add_co_u32_e32 v11, vcc, v7, v11
	v_addc_co_u32_e32 v12, vcc, v10, v12, vcc
	global_store_dwordx2 v[11:12], v[0:1], off
.LBB7_39:
	s_or_b64 exec, exec, s[8:9]
	s_and_b64 exec, exec, s[0:1]
	s_cbranch_execz .LBB7_44
; %bb.40:
	v_ashrrev_i32_e32 v1, 31, v6
	s_waitcnt lgkmcnt(0)
	v_mul_lo_u32 v11, s7, v6
	v_mul_lo_u32 v8, s6, v1
	v_mul_f32_e64 v0, v9, -v5
	v_mul_f32_e32 v1, v4, v9
	v_fmac_f32_e32 v0, v4, v22
	v_fmac_f32_e32 v1, v5, v22
	s_and_saveexec_b64 s[0:1], s[4:5]
	s_xor_b64 s[0:1], exec, s[0:1]
	s_cbranch_execz .LBB7_42
; %bb.41:
	v_mad_u64_u32 v[4:5], s[2:3], s6, v6, 0
	v_add3_u32 v5, v5, v8, v11
	v_lshlrev_b64 v[4:5], 3, v[4:5]
                                        ; implicit-def: $vgpr8
                                        ; implicit-def: $vgpr11
	v_add_co_u32_e32 v4, vcc, v7, v4
	v_addc_co_u32_e32 v5, vcc, v10, v5, vcc
	global_load_dwordx2 v[6:7], v[4:5], off
                                        ; implicit-def: $vgpr10
	s_waitcnt vmcnt(0)
	v_fmac_f32_e32 v0, v2, v6
	v_fmac_f32_e32 v1, v3, v6
	v_fma_f32 v0, -v3, v7, v0
	v_fmac_f32_e32 v1, v2, v7
	global_store_dwordx2 v[4:5], v[0:1], off
                                        ; implicit-def: $vgpr6
                                        ; implicit-def: $vgpr7
                                        ; implicit-def: $vgpr0
.LBB7_42:
	s_andn2_saveexec_b64 s[0:1], s[0:1]
	s_cbranch_execz .LBB7_44
; %bb.43:
	v_mad_u64_u32 v[2:3], s[0:1], s6, v6, 0
	v_add3_u32 v3, v3, v8, v11
	v_lshlrev_b64 v[2:3], 3, v[2:3]
	v_add_co_u32_e32 v2, vcc, v7, v2
	v_addc_co_u32_e32 v3, vcc, v10, v3, vcc
	global_store_dwordx2 v[2:3], v[0:1], off
.LBB7_44:
	s_endpgm
	.section	.rodata,"a",@progbits
	.p2align	6, 0x0
	.amdhsa_kernel _ZN9rocsparseL33gebsrmm_large_blockdim_kernel_extILi16ELi16ELi2E21rocsparse_complex_numIfEEEv20rocsparse_direction_20rocsparse_operation_iiNS_24const_host_device_scalarIT2_EEPKiS9_PKS6_iiSB_lS7_PS6_l21rocsparse_index_base_b
		.amdhsa_group_segment_fixed_size 6144
		.amdhsa_private_segment_fixed_size 0
		.amdhsa_kernarg_size 104
		.amdhsa_user_sgpr_count 6
		.amdhsa_user_sgpr_private_segment_buffer 1
		.amdhsa_user_sgpr_dispatch_ptr 0
		.amdhsa_user_sgpr_queue_ptr 0
		.amdhsa_user_sgpr_kernarg_segment_ptr 1
		.amdhsa_user_sgpr_dispatch_id 0
		.amdhsa_user_sgpr_flat_scratch_init 0
		.amdhsa_user_sgpr_private_segment_size 0
		.amdhsa_uses_dynamic_stack 0
		.amdhsa_system_sgpr_private_segment_wavefront_offset 0
		.amdhsa_system_sgpr_workgroup_id_x 1
		.amdhsa_system_sgpr_workgroup_id_y 1
		.amdhsa_system_sgpr_workgroup_id_z 0
		.amdhsa_system_sgpr_workgroup_info 0
		.amdhsa_system_vgpr_workitem_id 1
		.amdhsa_next_free_vgpr 31
		.amdhsa_next_free_sgpr 48
		.amdhsa_reserve_vcc 1
		.amdhsa_reserve_flat_scratch 0
		.amdhsa_float_round_mode_32 0
		.amdhsa_float_round_mode_16_64 0
		.amdhsa_float_denorm_mode_32 3
		.amdhsa_float_denorm_mode_16_64 3
		.amdhsa_dx10_clamp 1
		.amdhsa_ieee_mode 1
		.amdhsa_fp16_overflow 0
		.amdhsa_exception_fp_ieee_invalid_op 0
		.amdhsa_exception_fp_denorm_src 0
		.amdhsa_exception_fp_ieee_div_zero 0
		.amdhsa_exception_fp_ieee_overflow 0
		.amdhsa_exception_fp_ieee_underflow 0
		.amdhsa_exception_fp_ieee_inexact 0
		.amdhsa_exception_int_div_zero 0
	.end_amdhsa_kernel
	.section	.text._ZN9rocsparseL33gebsrmm_large_blockdim_kernel_extILi16ELi16ELi2E21rocsparse_complex_numIfEEEv20rocsparse_direction_20rocsparse_operation_iiNS_24const_host_device_scalarIT2_EEPKiS9_PKS6_iiSB_lS7_PS6_l21rocsparse_index_base_b,"axG",@progbits,_ZN9rocsparseL33gebsrmm_large_blockdim_kernel_extILi16ELi16ELi2E21rocsparse_complex_numIfEEEv20rocsparse_direction_20rocsparse_operation_iiNS_24const_host_device_scalarIT2_EEPKiS9_PKS6_iiSB_lS7_PS6_l21rocsparse_index_base_b,comdat
.Lfunc_end7:
	.size	_ZN9rocsparseL33gebsrmm_large_blockdim_kernel_extILi16ELi16ELi2E21rocsparse_complex_numIfEEEv20rocsparse_direction_20rocsparse_operation_iiNS_24const_host_device_scalarIT2_EEPKiS9_PKS6_iiSB_lS7_PS6_l21rocsparse_index_base_b, .Lfunc_end7-_ZN9rocsparseL33gebsrmm_large_blockdim_kernel_extILi16ELi16ELi2E21rocsparse_complex_numIfEEEv20rocsparse_direction_20rocsparse_operation_iiNS_24const_host_device_scalarIT2_EEPKiS9_PKS6_iiSB_lS7_PS6_l21rocsparse_index_base_b
                                        ; -- End function
	.set _ZN9rocsparseL33gebsrmm_large_blockdim_kernel_extILi16ELi16ELi2E21rocsparse_complex_numIfEEEv20rocsparse_direction_20rocsparse_operation_iiNS_24const_host_device_scalarIT2_EEPKiS9_PKS6_iiSB_lS7_PS6_l21rocsparse_index_base_b.num_vgpr, 31
	.set _ZN9rocsparseL33gebsrmm_large_blockdim_kernel_extILi16ELi16ELi2E21rocsparse_complex_numIfEEEv20rocsparse_direction_20rocsparse_operation_iiNS_24const_host_device_scalarIT2_EEPKiS9_PKS6_iiSB_lS7_PS6_l21rocsparse_index_base_b.num_agpr, 0
	.set _ZN9rocsparseL33gebsrmm_large_blockdim_kernel_extILi16ELi16ELi2E21rocsparse_complex_numIfEEEv20rocsparse_direction_20rocsparse_operation_iiNS_24const_host_device_scalarIT2_EEPKiS9_PKS6_iiSB_lS7_PS6_l21rocsparse_index_base_b.numbered_sgpr, 48
	.set _ZN9rocsparseL33gebsrmm_large_blockdim_kernel_extILi16ELi16ELi2E21rocsparse_complex_numIfEEEv20rocsparse_direction_20rocsparse_operation_iiNS_24const_host_device_scalarIT2_EEPKiS9_PKS6_iiSB_lS7_PS6_l21rocsparse_index_base_b.num_named_barrier, 0
	.set _ZN9rocsparseL33gebsrmm_large_blockdim_kernel_extILi16ELi16ELi2E21rocsparse_complex_numIfEEEv20rocsparse_direction_20rocsparse_operation_iiNS_24const_host_device_scalarIT2_EEPKiS9_PKS6_iiSB_lS7_PS6_l21rocsparse_index_base_b.private_seg_size, 0
	.set _ZN9rocsparseL33gebsrmm_large_blockdim_kernel_extILi16ELi16ELi2E21rocsparse_complex_numIfEEEv20rocsparse_direction_20rocsparse_operation_iiNS_24const_host_device_scalarIT2_EEPKiS9_PKS6_iiSB_lS7_PS6_l21rocsparse_index_base_b.uses_vcc, 1
	.set _ZN9rocsparseL33gebsrmm_large_blockdim_kernel_extILi16ELi16ELi2E21rocsparse_complex_numIfEEEv20rocsparse_direction_20rocsparse_operation_iiNS_24const_host_device_scalarIT2_EEPKiS9_PKS6_iiSB_lS7_PS6_l21rocsparse_index_base_b.uses_flat_scratch, 0
	.set _ZN9rocsparseL33gebsrmm_large_blockdim_kernel_extILi16ELi16ELi2E21rocsparse_complex_numIfEEEv20rocsparse_direction_20rocsparse_operation_iiNS_24const_host_device_scalarIT2_EEPKiS9_PKS6_iiSB_lS7_PS6_l21rocsparse_index_base_b.has_dyn_sized_stack, 0
	.set _ZN9rocsparseL33gebsrmm_large_blockdim_kernel_extILi16ELi16ELi2E21rocsparse_complex_numIfEEEv20rocsparse_direction_20rocsparse_operation_iiNS_24const_host_device_scalarIT2_EEPKiS9_PKS6_iiSB_lS7_PS6_l21rocsparse_index_base_b.has_recursion, 0
	.set _ZN9rocsparseL33gebsrmm_large_blockdim_kernel_extILi16ELi16ELi2E21rocsparse_complex_numIfEEEv20rocsparse_direction_20rocsparse_operation_iiNS_24const_host_device_scalarIT2_EEPKiS9_PKS6_iiSB_lS7_PS6_l21rocsparse_index_base_b.has_indirect_call, 0
	.section	.AMDGPU.csdata,"",@progbits
; Kernel info:
; codeLenInByte = 1648
; TotalNumSgprs: 52
; NumVgprs: 31
; ScratchSize: 0
; MemoryBound: 0
; FloatMode: 240
; IeeeMode: 1
; LDSByteSize: 6144 bytes/workgroup (compile time only)
; SGPRBlocks: 6
; VGPRBlocks: 7
; NumSGPRsForWavesPerEU: 52
; NumVGPRsForWavesPerEU: 31
; Occupancy: 8
; WaveLimiterHint : 1
; COMPUTE_PGM_RSRC2:SCRATCH_EN: 0
; COMPUTE_PGM_RSRC2:USER_SGPR: 6
; COMPUTE_PGM_RSRC2:TRAP_HANDLER: 0
; COMPUTE_PGM_RSRC2:TGID_X_EN: 1
; COMPUTE_PGM_RSRC2:TGID_Y_EN: 1
; COMPUTE_PGM_RSRC2:TGID_Z_EN: 0
; COMPUTE_PGM_RSRC2:TIDIG_COMP_CNT: 1
	.section	.text._ZN9rocsparseL33gebsrmm_large_blockdim_kernel_extILi32ELi32ELi2E21rocsparse_complex_numIfEEEv20rocsparse_direction_20rocsparse_operation_iiNS_24const_host_device_scalarIT2_EEPKiS9_PKS6_iiSB_lS7_PS6_l21rocsparse_index_base_b,"axG",@progbits,_ZN9rocsparseL33gebsrmm_large_blockdim_kernel_extILi32ELi32ELi2E21rocsparse_complex_numIfEEEv20rocsparse_direction_20rocsparse_operation_iiNS_24const_host_device_scalarIT2_EEPKiS9_PKS6_iiSB_lS7_PS6_l21rocsparse_index_base_b,comdat
	.globl	_ZN9rocsparseL33gebsrmm_large_blockdim_kernel_extILi32ELi32ELi2E21rocsparse_complex_numIfEEEv20rocsparse_direction_20rocsparse_operation_iiNS_24const_host_device_scalarIT2_EEPKiS9_PKS6_iiSB_lS7_PS6_l21rocsparse_index_base_b ; -- Begin function _ZN9rocsparseL33gebsrmm_large_blockdim_kernel_extILi32ELi32ELi2E21rocsparse_complex_numIfEEEv20rocsparse_direction_20rocsparse_operation_iiNS_24const_host_device_scalarIT2_EEPKiS9_PKS6_iiSB_lS7_PS6_l21rocsparse_index_base_b
	.p2align	8
	.type	_ZN9rocsparseL33gebsrmm_large_blockdim_kernel_extILi32ELi32ELi2E21rocsparse_complex_numIfEEEv20rocsparse_direction_20rocsparse_operation_iiNS_24const_host_device_scalarIT2_EEPKiS9_PKS6_iiSB_lS7_PS6_l21rocsparse_index_base_b,@function
_ZN9rocsparseL33gebsrmm_large_blockdim_kernel_extILi32ELi32ELi2E21rocsparse_complex_numIfEEEv20rocsparse_direction_20rocsparse_operation_iiNS_24const_host_device_scalarIT2_EEPKiS9_PKS6_iiSB_lS7_PS6_l21rocsparse_index_base_b: ; @_ZN9rocsparseL33gebsrmm_large_blockdim_kernel_extILi32ELi32ELi2E21rocsparse_complex_numIfEEEv20rocsparse_direction_20rocsparse_operation_iiNS_24const_host_device_scalarIT2_EEPKiS9_PKS6_iiSB_lS7_PS6_l21rocsparse_index_base_b
; %bb.0:
	s_load_dwordx2 s[0:1], s[4:5], 0x10
	s_load_dwordx4 s[16:19], s[4:5], 0x40
	s_load_dwordx2 s[24:25], s[4:5], 0x60
	s_add_u32 s2, s4, 16
	s_addc_u32 s3, s5, 0
	s_add_u32 s8, s4, 0x48
	s_addc_u32 s9, s5, 0
	s_waitcnt lgkmcnt(0)
	s_bitcmp1_b32 s25, 0
	s_cselect_b32 s1, s3, s1
	s_cselect_b32 s0, s2, s0
	v_mov_b32_e32 v2, s0
	v_mov_b32_e32 v3, s1
	flat_load_dwordx2 v[4:5], v[2:3]
	s_cselect_b32 s0, s9, s19
	s_cselect_b32 s1, s8, s18
	v_mov_b32_e32 v2, s1
	v_mov_b32_e32 v3, s0
	flat_load_dwordx2 v[2:3], v[2:3]
	s_waitcnt vmcnt(0) lgkmcnt(0)
	v_cmp_eq_f32_e32 vcc, 0, v4
	v_cmp_eq_f32_e64 s[0:1], 0, v5
	s_and_b64 s[8:9], vcc, s[0:1]
	s_mov_b64 s[0:1], -1
	s_and_saveexec_b64 s[2:3], s[8:9]
; %bb.1:
	v_cmp_neq_f32_e32 vcc, 1.0, v2
	v_cmp_neq_f32_e64 s[0:1], 0, v3
	s_or_b64 s[0:1], vcc, s[0:1]
	s_orn2_b64 s[0:1], s[0:1], exec
; %bb.2:
	s_or_b64 exec, exec, s[2:3]
	s_and_saveexec_b64 s[2:3], s[0:1]
	s_cbranch_execz .LBB8_44
; %bb.3:
	s_load_dwordx4 s[12:15], s[4:5], 0x0
	s_mov_b32 s25, 0
	s_waitcnt lgkmcnt(0)
	s_cmp_lt_i32 s6, s14
	s_cselect_b64 s[18:19], -1, 0
	s_cmp_ge_i32 s6, s14
	s_mov_b32 s14, 0
	s_cbranch_scc1 .LBB8_5
; %bb.4:
	s_load_dwordx2 s[2:3], s[4:5], 0x18
	s_mov_b32 s0, s7
	s_ashr_i32 s7, s6, 31
	s_lshl_b64 s[8:9], s[6:7], 2
	s_mov_b32 s7, s0
	s_waitcnt lgkmcnt(0)
	s_add_u32 s0, s2, s8
	s_addc_u32 s1, s3, s9
	s_load_dwordx2 s[2:3], s[0:1], 0x0
	s_waitcnt lgkmcnt(0)
	s_sub_i32 s14, s2, s24
	s_sub_i32 s25, s3, s24
.LBB8_5:
	s_load_dwordx2 s[26:27], s[4:5], 0x50
	s_load_dwordx2 s[28:29], s[4:5], 0x30
	v_lshl_add_u32 v8, s7, 6, v1
	v_add_u32_e32 v6, 32, v8
	v_cmp_gt_i32_e64 s[2:3], s15, v8
	v_cmp_gt_i32_e64 s[0:1], s15, v6
	s_waitcnt lgkmcnt(0)
	v_cmp_gt_i32_e64 s[8:9], s28, v0
	v_mov_b32_e32 v21, 0
	s_cmp_ge_i32 s14, s25
	v_mov_b32_e32 v7, 0
	v_mov_b32_e32 v23, 0
	;; [unrolled: 1-line block ×3, first 2 shown]
	s_cbranch_scc1 .LBB8_33
; %bb.6:
	v_cmp_gt_i32_e32 vcc, s29, v1
	s_and_b64 s[34:35], s[8:9], vcc
	s_cmpk_lg_i32 s13, 0x6f
	v_mov_b32_e32 v7, 0x4000
	s_cselect_b64 s[40:41], -1, 0
	s_cmp_eq_u32 s12, 0
	v_mad_u64_u32 v[10:11], s[12:13], s28, v1, v[0:1]
	v_lshl_or_b32 v17, v1, 3, v7
	v_mad_u64_u32 v[11:12], s[12:13], s29, v0, v[1:2]
	v_ashrrev_i32_e32 v9, 31, v8
	v_ashrrev_i32_e32 v7, 31, v6
	v_lshlrev_b32_e32 v24, 8, v1
	v_mul_lo_u32 v1, s17, v8
	v_mul_lo_u32 v12, s16, v9
	v_mad_u64_u32 v[13:14], s[12:13], s16, v8, 0
	v_mul_lo_u32 v20, s17, v6
	v_mul_lo_u32 v21, s16, v7
	v_mad_u64_u32 v[15:16], s[12:13], s16, v6, 0
	s_load_dwordx4 s[20:23], s[4:5], 0x20
	s_load_dwordx2 s[30:31], s[4:5], 0x38
	s_cselect_b64 vcc, -1, 0
	s_cmp_gt_i32 s29, 0
	s_cselect_b64 s[12:13], -1, 0
	v_add3_u32 v14, v14, v12, v1
	v_add3_u32 v16, v16, v21, v20
	v_cndmask_b32_e32 v1, v10, v11, vcc
	v_cndmask_b32_e64 v10, 0, 1, s[40:41]
	v_lshlrev_b32_e32 v18, 3, v0
	v_lshlrev_b32_e32 v19, 8, v0
	s_and_b64 s[36:37], s[2:3], s[12:13]
	s_and_b64 s[38:39], s[0:1], s[12:13]
	v_cmp_ne_u32_e64 s[12:13], 1, v10
	v_lshlrev_b64 v[9:10], 3, v[8:9]
	v_lshlrev_b64 v[11:12], 3, v[6:7]
	;; [unrolled: 1-line block ×4, first 2 shown]
	s_mul_i32 s7, s29, s28
	v_cmp_gt_i32_e64 s[10:11], s29, v0
	v_add_u32_e32 v25, 0x4000, v19
	v_mov_b32_e32 v22, 0
	v_add_u32_e32 v26, v18, v24
	v_add_u32_e32 v27, v17, v19
	v_mov_b32_e32 v23, 0
	v_mov_b32_e32 v7, 0
	;; [unrolled: 1-line block ×3, first 2 shown]
	s_branch .LBB8_9
.LBB8_7:                                ;   in Loop: Header=BB8_9 Depth=1
	s_or_b64 exec, exec, s[42:43]
.LBB8_8:                                ;   in Loop: Header=BB8_9 Depth=1
	s_or_b64 exec, exec, s[40:41]
	s_add_i32 s14, s14, 1
	s_cmp_ge_i32 s14, s25
	s_barrier
	s_cbranch_scc1 .LBB8_33
.LBB8_9:                                ; =>This Loop Header: Depth=1
                                        ;     Child Loop BB8_29 Depth 2
                                        ;     Child Loop BB8_32 Depth 2
	s_and_saveexec_b64 s[40:41], s[10:11]
	s_cbranch_execz .LBB8_24
; %bb.10:                               ;   in Loop: Header=BB8_9 Depth=1
	s_ashr_i32 s15, s14, 31
	s_lshl_b64 s[42:43], s[14:15], 2
	s_waitcnt lgkmcnt(0)
	s_add_u32 s42, s20, s42
	s_addc_u32 s43, s21, s43
	s_load_dword s15, s[42:43], 0x0
	s_and_b64 vcc, exec, s[12:13]
	s_waitcnt lgkmcnt(0)
	s_sub_i32 s15, s15, s24
	s_mul_i32 s15, s15, s29
	v_add_u32_e32 v17, s15, v0
	v_ashrrev_i32_e32 v18, 31, v17
	s_cbranch_vccnz .LBB8_16
; %bb.11:                               ;   in Loop: Header=BB8_9 Depth=1
	v_mul_lo_u32 v28, s17, v17
	v_mul_lo_u32 v29, s16, v18
	v_mad_u64_u32 v[19:20], s[42:43], s16, v17, 0
	v_add3_u32 v20, v20, v29, v28
	v_lshlrev_b64 v[19:20], 3, v[19:20]
	v_mov_b32_e32 v29, s31
	v_add_co_u32_e32 v28, vcc, s30, v19
	v_addc_co_u32_e32 v29, vcc, v29, v20, vcc
	s_and_saveexec_b64 s[42:43], s[2:3]
	s_cbranch_execz .LBB8_13
; %bb.12:                               ;   in Loop: Header=BB8_9 Depth=1
	v_add_co_u32_e32 v19, vcc, v28, v9
	v_addc_co_u32_e32 v20, vcc, v29, v10, vcc
	global_load_dwordx2 v[19:20], v[19:20], off
	s_waitcnt vmcnt(0)
	ds_write_b64 v26, v[19:20]
.LBB8_13:                               ;   in Loop: Header=BB8_9 Depth=1
	s_or_b64 exec, exec, s[42:43]
	s_mov_b64 s[44:45], 0
	s_mov_b64 s[42:43], 0
                                        ; implicit-def: $vgpr19_vgpr20
	s_and_saveexec_b64 s[46:47], s[0:1]
	s_xor_b64 s[46:47], exec, s[46:47]
; %bb.14:                               ;   in Loop: Header=BB8_9 Depth=1
	v_add_co_u32_e32 v19, vcc, v28, v11
	s_mov_b64 s[42:43], exec
	v_addc_co_u32_e32 v20, vcc, v29, v12, vcc
; %bb.15:                               ;   in Loop: Header=BB8_9 Depth=1
	s_or_b64 exec, exec, s[46:47]
	s_and_b64 vcc, exec, s[44:45]
	s_cbranch_vccnz .LBB8_17
	s_branch .LBB8_22
.LBB8_16:                               ;   in Loop: Header=BB8_9 Depth=1
	s_mov_b64 s[42:43], 0
                                        ; implicit-def: $vgpr19_vgpr20
	s_cbranch_execz .LBB8_22
.LBB8_17:                               ;   in Loop: Header=BB8_9 Depth=1
	v_lshlrev_b64 v[17:18], 3, v[17:18]
	v_mov_b32_e32 v19, s31
	v_add_co_u32_e32 v17, vcc, s30, v17
	v_addc_co_u32_e32 v18, vcc, v19, v18, vcc
	s_and_saveexec_b64 s[44:45], s[2:3]
	s_cbranch_execz .LBB8_19
; %bb.18:                               ;   in Loop: Header=BB8_9 Depth=1
	v_add_co_u32_e32 v19, vcc, v17, v13
	v_addc_co_u32_e32 v20, vcc, v18, v14, vcc
	global_load_dwordx2 v[19:20], v[19:20], off
	s_waitcnt vmcnt(0)
	ds_write_b64 v26, v[19:20]
.LBB8_19:                               ;   in Loop: Header=BB8_9 Depth=1
	s_or_b64 exec, exec, s[44:45]
                                        ; implicit-def: $vgpr19_vgpr20
	s_and_saveexec_b64 s[44:45], s[0:1]
; %bb.20:                               ;   in Loop: Header=BB8_9 Depth=1
	v_add_co_u32_e32 v19, vcc, v17, v15
	v_addc_co_u32_e32 v20, vcc, v18, v16, vcc
	s_or_b64 s[42:43], s[42:43], exec
; %bb.21:                               ;   in Loop: Header=BB8_9 Depth=1
	s_or_b64 exec, exec, s[44:45]
.LBB8_22:                               ;   in Loop: Header=BB8_9 Depth=1
	s_and_b64 exec, exec, s[42:43]
	s_cbranch_execz .LBB8_24
; %bb.23:                               ;   in Loop: Header=BB8_9 Depth=1
	global_load_dwordx2 v[17:18], v[19:20], off
	s_waitcnt vmcnt(0)
	ds_write_b64 v26, v[17:18] offset:8192
.LBB8_24:                               ;   in Loop: Header=BB8_9 Depth=1
	s_or_b64 exec, exec, s[40:41]
	s_and_saveexec_b64 s[40:41], s[34:35]
	s_cbranch_execz .LBB8_26
; %bb.25:                               ;   in Loop: Header=BB8_9 Depth=1
	s_mul_i32 s15, s7, s14
	v_add_u32_e32 v17, s15, v1
	v_ashrrev_i32_e32 v18, 31, v17
	v_lshlrev_b64 v[17:18], 3, v[17:18]
	s_waitcnt lgkmcnt(0)
	v_mov_b32_e32 v19, s23
	v_add_co_u32_e32 v17, vcc, s22, v17
	v_addc_co_u32_e32 v18, vcc, v19, v18, vcc
	global_load_dwordx2 v[17:18], v[17:18], off
	s_waitcnt vmcnt(0)
	ds_write_b64 v27, v[17:18]
.LBB8_26:                               ;   in Loop: Header=BB8_9 Depth=1
	s_or_b64 exec, exec, s[40:41]
	s_waitcnt lgkmcnt(0)
	s_barrier
	s_and_saveexec_b64 s[40:41], s[8:9]
	s_cbranch_execz .LBB8_8
; %bb.27:                               ;   in Loop: Header=BB8_9 Depth=1
	s_and_saveexec_b64 s[42:43], s[36:37]
	s_cbranch_execz .LBB8_30
; %bb.28:                               ;   in Loop: Header=BB8_9 Depth=1
	v_mov_b32_e32 v17, v25
	v_mov_b32_e32 v18, v24
	s_mov_b32 s15, s29
.LBB8_29:                               ;   Parent Loop BB8_9 Depth=1
                                        ; =>  This Inner Loop Header: Depth=2
	ds_read_b64 v[19:20], v17
	ds_read_b64 v[28:29], v18
	s_add_i32 s15, s15, -1
	v_add_u32_e32 v18, 8, v18
	v_add_u32_e32 v17, 8, v17
	s_cmp_lg_u32 s15, 0
	s_waitcnt lgkmcnt(0)
	v_fmac_f32_e32 v22, v19, v28
	v_fmac_f32_e32 v23, v20, v28
	v_fma_f32 v22, -v20, v29, v22
	v_fmac_f32_e32 v23, v19, v29
	s_cbranch_scc1 .LBB8_29
.LBB8_30:                               ;   in Loop: Header=BB8_9 Depth=1
	s_or_b64 exec, exec, s[42:43]
	s_and_saveexec_b64 s[42:43], s[38:39]
	s_cbranch_execz .LBB8_7
; %bb.31:                               ;   in Loop: Header=BB8_9 Depth=1
	v_mov_b32_e32 v17, v25
	s_mov_b32 s15, s29
	v_add_u32_e32 v18, 0x2000, v24
.LBB8_32:                               ;   Parent Loop BB8_9 Depth=1
                                        ; =>  This Inner Loop Header: Depth=2
	ds_read_b64 v[19:20], v17
	ds_read_b64 v[28:29], v18
	s_add_i32 s15, s15, -1
	v_add_u32_e32 v18, 8, v18
	v_add_u32_e32 v17, 8, v17
	s_cmp_lg_u32 s15, 0
	s_waitcnt lgkmcnt(0)
	v_fmac_f32_e32 v7, v19, v28
	v_fmac_f32_e32 v21, v20, v28
	v_fma_f32 v7, -v20, v29, v7
	v_fmac_f32_e32 v21, v19, v29
	s_cbranch_scc1 .LBB8_32
	s_branch .LBB8_7
.LBB8_33:
	s_and_b64 s[8:9], s[18:19], s[8:9]
	s_and_b64 exec, exec, s[8:9]
	s_cbranch_execz .LBB8_44
; %bb.34:
	s_mul_i32 s6, s28, s6
	v_add_u32_e32 v0, s6, v0
	s_load_dwordx2 s[6:7], s[4:5], 0x58
	v_ashrrev_i32_e32 v1, 31, v0
	v_lshlrev_b64 v[0:1], 3, v[0:1]
	v_cmp_neq_f32_e32 vcc, 0, v2
	v_cmp_neq_f32_e64 s[4:5], 0, v3
	s_or_b64 s[4:5], vcc, s[4:5]
	v_mov_b32_e32 v10, s27
	v_add_co_u32_e32 v9, vcc, s26, v0
	v_addc_co_u32_e32 v10, vcc, v10, v1, vcc
	s_and_saveexec_b64 s[8:9], s[2:3]
	s_cbranch_execz .LBB8_39
; %bb.35:
	v_ashrrev_i32_e32 v1, 31, v8
	s_waitcnt lgkmcnt(0)
	v_mul_lo_u32 v12, s7, v8
	v_mul_lo_u32 v11, s6, v1
	v_mul_f32_e64 v0, v23, -v5
	v_mul_f32_e32 v1, v4, v23
	v_fmac_f32_e32 v0, v4, v22
	v_fmac_f32_e32 v1, v5, v22
	s_and_saveexec_b64 s[2:3], s[4:5]
	s_xor_b64 s[2:3], exec, s[2:3]
	s_cbranch_execz .LBB8_37
; %bb.36:
	v_mad_u64_u32 v[13:14], s[10:11], s6, v8, 0
                                        ; implicit-def: $vgpr8
	v_add3_u32 v14, v14, v11, v12
	v_lshlrev_b64 v[11:12], 3, v[13:14]
	v_add_co_u32_e32 v11, vcc, v9, v11
	v_addc_co_u32_e32 v12, vcc, v10, v12, vcc
	global_load_dwordx2 v[13:14], v[11:12], off
	s_waitcnt vmcnt(0)
	v_fmac_f32_e32 v0, v2, v13
	v_fmac_f32_e32 v1, v3, v13
	v_fma_f32 v0, -v3, v14, v0
	v_fmac_f32_e32 v1, v2, v14
	global_store_dwordx2 v[11:12], v[0:1], off
                                        ; implicit-def: $vgpr11
                                        ; implicit-def: $vgpr12
                                        ; implicit-def: $vgpr0
.LBB8_37:
	s_andn2_saveexec_b64 s[2:3], s[2:3]
	s_cbranch_execz .LBB8_39
; %bb.38:
	v_mad_u64_u32 v[13:14], s[2:3], s6, v8, 0
	v_add3_u32 v14, v14, v11, v12
	v_lshlrev_b64 v[11:12], 3, v[13:14]
	v_add_co_u32_e32 v11, vcc, v9, v11
	v_addc_co_u32_e32 v12, vcc, v10, v12, vcc
	global_store_dwordx2 v[11:12], v[0:1], off
.LBB8_39:
	s_or_b64 exec, exec, s[8:9]
	s_and_b64 exec, exec, s[0:1]
	s_cbranch_execz .LBB8_44
; %bb.40:
	v_ashrrev_i32_e32 v1, 31, v6
	s_waitcnt lgkmcnt(0)
	v_mul_lo_u32 v11, s7, v6
	v_mul_lo_u32 v8, s6, v1
	v_mul_f32_e64 v0, v21, -v5
	v_mul_f32_e32 v1, v4, v21
	v_fmac_f32_e32 v0, v4, v7
	v_fmac_f32_e32 v1, v5, v7
	s_and_saveexec_b64 s[0:1], s[4:5]
	s_xor_b64 s[0:1], exec, s[0:1]
	s_cbranch_execz .LBB8_42
; %bb.41:
	v_mad_u64_u32 v[4:5], s[2:3], s6, v6, 0
	v_add3_u32 v5, v5, v8, v11
	v_lshlrev_b64 v[4:5], 3, v[4:5]
                                        ; implicit-def: $vgpr8
                                        ; implicit-def: $vgpr11
	v_add_co_u32_e32 v4, vcc, v9, v4
	v_addc_co_u32_e32 v5, vcc, v10, v5, vcc
	global_load_dwordx2 v[6:7], v[4:5], off
                                        ; implicit-def: $vgpr9
                                        ; implicit-def: $vgpr10
	s_waitcnt vmcnt(0)
	v_fmac_f32_e32 v0, v2, v6
	v_fmac_f32_e32 v1, v3, v6
	v_fma_f32 v0, -v3, v7, v0
	v_fmac_f32_e32 v1, v2, v7
	global_store_dwordx2 v[4:5], v[0:1], off
                                        ; implicit-def: $vgpr6
                                        ; implicit-def: $vgpr0
.LBB8_42:
	s_andn2_saveexec_b64 s[0:1], s[0:1]
	s_cbranch_execz .LBB8_44
; %bb.43:
	v_mad_u64_u32 v[2:3], s[0:1], s6, v6, 0
	v_add3_u32 v3, v3, v8, v11
	v_lshlrev_b64 v[2:3], 3, v[2:3]
	v_add_co_u32_e32 v2, vcc, v9, v2
	v_addc_co_u32_e32 v3, vcc, v10, v3, vcc
	global_store_dwordx2 v[2:3], v[0:1], off
.LBB8_44:
	s_endpgm
	.section	.rodata,"a",@progbits
	.p2align	6, 0x0
	.amdhsa_kernel _ZN9rocsparseL33gebsrmm_large_blockdim_kernel_extILi32ELi32ELi2E21rocsparse_complex_numIfEEEv20rocsparse_direction_20rocsparse_operation_iiNS_24const_host_device_scalarIT2_EEPKiS9_PKS6_iiSB_lS7_PS6_l21rocsparse_index_base_b
		.amdhsa_group_segment_fixed_size 24576
		.amdhsa_private_segment_fixed_size 0
		.amdhsa_kernarg_size 104
		.amdhsa_user_sgpr_count 6
		.amdhsa_user_sgpr_private_segment_buffer 1
		.amdhsa_user_sgpr_dispatch_ptr 0
		.amdhsa_user_sgpr_queue_ptr 0
		.amdhsa_user_sgpr_kernarg_segment_ptr 1
		.amdhsa_user_sgpr_dispatch_id 0
		.amdhsa_user_sgpr_flat_scratch_init 0
		.amdhsa_user_sgpr_private_segment_size 0
		.amdhsa_uses_dynamic_stack 0
		.amdhsa_system_sgpr_private_segment_wavefront_offset 0
		.amdhsa_system_sgpr_workgroup_id_x 1
		.amdhsa_system_sgpr_workgroup_id_y 1
		.amdhsa_system_sgpr_workgroup_id_z 0
		.amdhsa_system_sgpr_workgroup_info 0
		.amdhsa_system_vgpr_workitem_id 1
		.amdhsa_next_free_vgpr 30
		.amdhsa_next_free_sgpr 61
		.amdhsa_reserve_vcc 1
		.amdhsa_reserve_flat_scratch 0
		.amdhsa_float_round_mode_32 0
		.amdhsa_float_round_mode_16_64 0
		.amdhsa_float_denorm_mode_32 3
		.amdhsa_float_denorm_mode_16_64 3
		.amdhsa_dx10_clamp 1
		.amdhsa_ieee_mode 1
		.amdhsa_fp16_overflow 0
		.amdhsa_exception_fp_ieee_invalid_op 0
		.amdhsa_exception_fp_denorm_src 0
		.amdhsa_exception_fp_ieee_div_zero 0
		.amdhsa_exception_fp_ieee_overflow 0
		.amdhsa_exception_fp_ieee_underflow 0
		.amdhsa_exception_fp_ieee_inexact 0
		.amdhsa_exception_int_div_zero 0
	.end_amdhsa_kernel
	.section	.text._ZN9rocsparseL33gebsrmm_large_blockdim_kernel_extILi32ELi32ELi2E21rocsparse_complex_numIfEEEv20rocsparse_direction_20rocsparse_operation_iiNS_24const_host_device_scalarIT2_EEPKiS9_PKS6_iiSB_lS7_PS6_l21rocsparse_index_base_b,"axG",@progbits,_ZN9rocsparseL33gebsrmm_large_blockdim_kernel_extILi32ELi32ELi2E21rocsparse_complex_numIfEEEv20rocsparse_direction_20rocsparse_operation_iiNS_24const_host_device_scalarIT2_EEPKiS9_PKS6_iiSB_lS7_PS6_l21rocsparse_index_base_b,comdat
.Lfunc_end8:
	.size	_ZN9rocsparseL33gebsrmm_large_blockdim_kernel_extILi32ELi32ELi2E21rocsparse_complex_numIfEEEv20rocsparse_direction_20rocsparse_operation_iiNS_24const_host_device_scalarIT2_EEPKiS9_PKS6_iiSB_lS7_PS6_l21rocsparse_index_base_b, .Lfunc_end8-_ZN9rocsparseL33gebsrmm_large_blockdim_kernel_extILi32ELi32ELi2E21rocsparse_complex_numIfEEEv20rocsparse_direction_20rocsparse_operation_iiNS_24const_host_device_scalarIT2_EEPKiS9_PKS6_iiSB_lS7_PS6_l21rocsparse_index_base_b
                                        ; -- End function
	.set _ZN9rocsparseL33gebsrmm_large_blockdim_kernel_extILi32ELi32ELi2E21rocsparse_complex_numIfEEEv20rocsparse_direction_20rocsparse_operation_iiNS_24const_host_device_scalarIT2_EEPKiS9_PKS6_iiSB_lS7_PS6_l21rocsparse_index_base_b.num_vgpr, 30
	.set _ZN9rocsparseL33gebsrmm_large_blockdim_kernel_extILi32ELi32ELi2E21rocsparse_complex_numIfEEEv20rocsparse_direction_20rocsparse_operation_iiNS_24const_host_device_scalarIT2_EEPKiS9_PKS6_iiSB_lS7_PS6_l21rocsparse_index_base_b.num_agpr, 0
	.set _ZN9rocsparseL33gebsrmm_large_blockdim_kernel_extILi32ELi32ELi2E21rocsparse_complex_numIfEEEv20rocsparse_direction_20rocsparse_operation_iiNS_24const_host_device_scalarIT2_EEPKiS9_PKS6_iiSB_lS7_PS6_l21rocsparse_index_base_b.numbered_sgpr, 48
	.set _ZN9rocsparseL33gebsrmm_large_blockdim_kernel_extILi32ELi32ELi2E21rocsparse_complex_numIfEEEv20rocsparse_direction_20rocsparse_operation_iiNS_24const_host_device_scalarIT2_EEPKiS9_PKS6_iiSB_lS7_PS6_l21rocsparse_index_base_b.num_named_barrier, 0
	.set _ZN9rocsparseL33gebsrmm_large_blockdim_kernel_extILi32ELi32ELi2E21rocsparse_complex_numIfEEEv20rocsparse_direction_20rocsparse_operation_iiNS_24const_host_device_scalarIT2_EEPKiS9_PKS6_iiSB_lS7_PS6_l21rocsparse_index_base_b.private_seg_size, 0
	.set _ZN9rocsparseL33gebsrmm_large_blockdim_kernel_extILi32ELi32ELi2E21rocsparse_complex_numIfEEEv20rocsparse_direction_20rocsparse_operation_iiNS_24const_host_device_scalarIT2_EEPKiS9_PKS6_iiSB_lS7_PS6_l21rocsparse_index_base_b.uses_vcc, 1
	.set _ZN9rocsparseL33gebsrmm_large_blockdim_kernel_extILi32ELi32ELi2E21rocsparse_complex_numIfEEEv20rocsparse_direction_20rocsparse_operation_iiNS_24const_host_device_scalarIT2_EEPKiS9_PKS6_iiSB_lS7_PS6_l21rocsparse_index_base_b.uses_flat_scratch, 0
	.set _ZN9rocsparseL33gebsrmm_large_blockdim_kernel_extILi32ELi32ELi2E21rocsparse_complex_numIfEEEv20rocsparse_direction_20rocsparse_operation_iiNS_24const_host_device_scalarIT2_EEPKiS9_PKS6_iiSB_lS7_PS6_l21rocsparse_index_base_b.has_dyn_sized_stack, 0
	.set _ZN9rocsparseL33gebsrmm_large_blockdim_kernel_extILi32ELi32ELi2E21rocsparse_complex_numIfEEEv20rocsparse_direction_20rocsparse_operation_iiNS_24const_host_device_scalarIT2_EEPKiS9_PKS6_iiSB_lS7_PS6_l21rocsparse_index_base_b.has_recursion, 0
	.set _ZN9rocsparseL33gebsrmm_large_blockdim_kernel_extILi32ELi32ELi2E21rocsparse_complex_numIfEEEv20rocsparse_direction_20rocsparse_operation_iiNS_24const_host_device_scalarIT2_EEPKiS9_PKS6_iiSB_lS7_PS6_l21rocsparse_index_base_b.has_indirect_call, 0
	.section	.AMDGPU.csdata,"",@progbits
; Kernel info:
; codeLenInByte = 1648
; TotalNumSgprs: 52
; NumVgprs: 30
; ScratchSize: 0
; MemoryBound: 0
; FloatMode: 240
; IeeeMode: 1
; LDSByteSize: 24576 bytes/workgroup (compile time only)
; SGPRBlocks: 8
; VGPRBlocks: 7
; NumSGPRsForWavesPerEU: 65
; NumVGPRsForWavesPerEU: 30
; Occupancy: 8
; WaveLimiterHint : 1
; COMPUTE_PGM_RSRC2:SCRATCH_EN: 0
; COMPUTE_PGM_RSRC2:USER_SGPR: 6
; COMPUTE_PGM_RSRC2:TRAP_HANDLER: 0
; COMPUTE_PGM_RSRC2:TGID_X_EN: 1
; COMPUTE_PGM_RSRC2:TGID_Y_EN: 1
; COMPUTE_PGM_RSRC2:TGID_Z_EN: 0
; COMPUTE_PGM_RSRC2:TIDIG_COMP_CNT: 1
	.section	.text._ZN9rocsparseL33gebsrmm_large_blockdim_kernel_extILi8ELi8ELi2E21rocsparse_complex_numIdEEEv20rocsparse_direction_20rocsparse_operation_iiNS_24const_host_device_scalarIT2_EEPKiS9_PKS6_iiSB_lS7_PS6_l21rocsparse_index_base_b,"axG",@progbits,_ZN9rocsparseL33gebsrmm_large_blockdim_kernel_extILi8ELi8ELi2E21rocsparse_complex_numIdEEEv20rocsparse_direction_20rocsparse_operation_iiNS_24const_host_device_scalarIT2_EEPKiS9_PKS6_iiSB_lS7_PS6_l21rocsparse_index_base_b,comdat
	.globl	_ZN9rocsparseL33gebsrmm_large_blockdim_kernel_extILi8ELi8ELi2E21rocsparse_complex_numIdEEEv20rocsparse_direction_20rocsparse_operation_iiNS_24const_host_device_scalarIT2_EEPKiS9_PKS6_iiSB_lS7_PS6_l21rocsparse_index_base_b ; -- Begin function _ZN9rocsparseL33gebsrmm_large_blockdim_kernel_extILi8ELi8ELi2E21rocsparse_complex_numIdEEEv20rocsparse_direction_20rocsparse_operation_iiNS_24const_host_device_scalarIT2_EEPKiS9_PKS6_iiSB_lS7_PS6_l21rocsparse_index_base_b
	.p2align	8
	.type	_ZN9rocsparseL33gebsrmm_large_blockdim_kernel_extILi8ELi8ELi2E21rocsparse_complex_numIdEEEv20rocsparse_direction_20rocsparse_operation_iiNS_24const_host_device_scalarIT2_EEPKiS9_PKS6_iiSB_lS7_PS6_l21rocsparse_index_base_b,@function
_ZN9rocsparseL33gebsrmm_large_blockdim_kernel_extILi8ELi8ELi2E21rocsparse_complex_numIdEEEv20rocsparse_direction_20rocsparse_operation_iiNS_24const_host_device_scalarIT2_EEPKiS9_PKS6_iiSB_lS7_PS6_l21rocsparse_index_base_b: ; @_ZN9rocsparseL33gebsrmm_large_blockdim_kernel_extILi8ELi8ELi2E21rocsparse_complex_numIdEEEv20rocsparse_direction_20rocsparse_operation_iiNS_24const_host_device_scalarIT2_EEPKiS9_PKS6_iiSB_lS7_PS6_l21rocsparse_index_base_b
; %bb.0:
	s_load_dwordx2 s[0:1], s[4:5], 0x10
	s_load_dwordx4 s[16:19], s[4:5], 0x48
	s_load_dwordx2 s[24:25], s[4:5], 0x70
	s_add_u32 s2, s4, 16
	s_addc_u32 s3, s5, 0
	s_add_u32 s8, s4, 0x50
	s_addc_u32 s9, s5, 0
	s_waitcnt lgkmcnt(0)
	s_bitcmp1_b32 s25, 0
	s_cselect_b32 s1, s3, s1
	s_cselect_b32 s0, s2, s0
	v_mov_b32_e32 v2, s0
	v_mov_b32_e32 v3, s1
	flat_load_dwordx4 v[6:9], v[2:3]
	s_cselect_b32 s0, s9, s19
	s_cselect_b32 s1, s8, s18
	v_mov_b32_e32 v2, s1
	v_mov_b32_e32 v3, s0
	flat_load_dwordx4 v[2:5], v[2:3]
	s_waitcnt vmcnt(0) lgkmcnt(0)
	v_cmp_eq_f64_e32 vcc, 0, v[6:7]
	v_cmp_eq_f64_e64 s[0:1], 0, v[8:9]
	s_and_b64 s[8:9], vcc, s[0:1]
	s_mov_b64 s[0:1], -1
	s_and_saveexec_b64 s[2:3], s[8:9]
	s_cbranch_execz .LBB9_2
; %bb.1:
	v_cmp_neq_f64_e32 vcc, 1.0, v[2:3]
	v_cmp_neq_f64_e64 s[0:1], 0, v[4:5]
	s_or_b64 s[0:1], vcc, s[0:1]
	s_orn2_b64 s[0:1], s[0:1], exec
.LBB9_2:
	s_or_b64 exec, exec, s[2:3]
	s_and_saveexec_b64 s[2:3], s[0:1]
	s_cbranch_execz .LBB9_44
; %bb.3:
	s_load_dwordx4 s[12:15], s[4:5], 0x0
	s_mov_b32 s25, 0
	s_waitcnt lgkmcnt(0)
	s_cmp_lt_i32 s6, s14
	s_cselect_b64 s[26:27], -1, 0
	s_cmp_ge_i32 s6, s14
	s_mov_b32 s14, 0
	s_cbranch_scc1 .LBB9_5
; %bb.4:
	s_load_dwordx2 s[2:3], s[4:5], 0x20
	s_mov_b32 s0, s7
	s_ashr_i32 s7, s6, 31
	s_lshl_b64 s[8:9], s[6:7], 2
	s_mov_b32 s7, s0
	s_waitcnt lgkmcnt(0)
	s_add_u32 s0, s2, s8
	s_addc_u32 s1, s3, s9
	s_load_dwordx2 s[2:3], s[0:1], 0x0
	s_waitcnt lgkmcnt(0)
	s_sub_i32 s14, s2, s24
	s_sub_i32 s25, s3, s24
.LBB9_5:
	s_load_dwordx2 s[18:19], s[4:5], 0x60
	s_load_dwordx2 s[28:29], s[4:5], 0x38
	v_lshl_add_u32 v16, s7, 4, v1
	v_add_u32_e32 v14, 8, v16
	v_mov_b32_e32 v19, 0
	v_mov_b32_e32 v17, 0
	;; [unrolled: 1-line block ×4, first 2 shown]
	v_cmp_gt_i32_e64 s[2:3], s15, v16
	v_cmp_gt_i32_e64 s[0:1], s15, v14
	v_mov_b32_e32 v20, 0
	s_cmp_ge_i32 s14, s25
	v_mov_b32_e32 v18, 0
	v_mov_b32_e32 v11, 0
	v_mov_b32_e32 v13, 0
	s_waitcnt lgkmcnt(0)
	v_cmp_gt_i32_e64 s[8:9], s28, v0
	s_cbranch_scc1 .LBB9_33
; %bb.6:
	v_cmp_gt_i32_e32 vcc, s29, v1
	s_and_b64 s[34:35], s[8:9], vcc
	s_cmpk_lg_i32 s13, 0x6f
	s_cselect_b64 s[40:41], -1, 0
	s_cmp_eq_u32 s12, 0
	v_mad_u64_u32 v[10:11], s[12:13], s28, v1, v[0:1]
	v_mad_u64_u32 v[11:12], s[12:13], s29, v0, v[1:2]
	v_mov_b32_e32 v12, 0x800
	v_ashrrev_i32_e32 v17, 31, v16
	v_ashrrev_i32_e32 v15, 31, v14
	v_lshl_add_u32 v35, v0, 7, v12
	v_mul_lo_u32 v12, s17, v16
	v_mul_lo_u32 v13, s16, v17
	v_mad_u64_u32 v[18:19], s[12:13], s16, v16, 0
	v_mul_lo_u32 v20, s17, v14
	v_mul_lo_u32 v21, s16, v15
	v_mad_u64_u32 v[27:28], s[12:13], s16, v14, 0
	s_load_dwordx4 s[20:23], s[4:5], 0x28
	s_load_dwordx2 s[30:31], s[4:5], 0x40
	v_lshlrev_b32_e32 v33, 7, v1
	s_cselect_b64 vcc, -1, 0
	s_cmp_gt_i32 s29, 0
	v_add3_u32 v19, v19, v13, v12
	v_add3_u32 v28, v28, v21, v20
	v_lshl_add_u32 v34, v0, 4, v33
	s_cselect_b64 s[12:13], -1, 0
	v_cndmask_b32_e32 v37, v10, v11, vcc
	v_mov_b32_e32 v12, 0
	v_lshlrev_b64 v[21:22], 4, v[16:17]
	v_lshlrev_b64 v[23:24], 4, v[14:15]
	;; [unrolled: 1-line block ×4, first 2 shown]
	v_cndmask_b32_e64 v15, 0, 1, s[40:41]
	v_mov_b32_e32 v10, 0
	v_mov_b32_e32 v17, 0
	v_mov_b32_e32 v19, 0
	s_mul_i32 s7, s29, s28
	v_cmp_gt_i32_e64 s[10:11], s29, v0
	v_lshl_add_u32 v1, v1, 4, v35
	v_add_u32_e32 v36, 0x400, v34
	s_and_b64 s[36:37], s[2:3], s[12:13]
	s_and_b64 s[38:39], s[0:1], s[12:13]
	v_add_u32_e32 v38, 0x400, v33
	v_mov_b32_e32 v13, 0
	v_mov_b32_e32 v11, 0
	;; [unrolled: 1-line block ×4, first 2 shown]
	v_cmp_ne_u32_e64 s[12:13], 1, v15
	s_branch .LBB9_9
.LBB9_7:                                ;   in Loop: Header=BB9_9 Depth=1
	s_or_b64 exec, exec, s[42:43]
.LBB9_8:                                ;   in Loop: Header=BB9_9 Depth=1
	s_or_b64 exec, exec, s[40:41]
	s_add_i32 s14, s14, 1
	s_cmp_ge_i32 s14, s25
	; wave barrier
	s_cbranch_scc1 .LBB9_33
.LBB9_9:                                ; =>This Loop Header: Depth=1
                                        ;     Child Loop BB9_29 Depth 2
                                        ;     Child Loop BB9_32 Depth 2
	s_and_saveexec_b64 s[40:41], s[10:11]
	s_cbranch_execz .LBB9_24
; %bb.10:                               ;   in Loop: Header=BB9_9 Depth=1
	s_ashr_i32 s15, s14, 31
	s_lshl_b64 s[42:43], s[14:15], 2
	s_waitcnt lgkmcnt(0)
	s_add_u32 s42, s20, s42
	s_addc_u32 s43, s21, s43
	s_load_dword s15, s[42:43], 0x0
	s_and_b64 vcc, exec, s[12:13]
	s_waitcnt lgkmcnt(0)
	s_sub_i32 s15, s15, s24
	s_mul_i32 s15, s15, s29
	v_add_u32_e32 v29, s15, v0
	v_ashrrev_i32_e32 v30, 31, v29
	s_cbranch_vccnz .LBB9_16
; %bb.11:                               ;   in Loop: Header=BB9_9 Depth=1
	v_mul_lo_u32 v15, s17, v29
	v_mul_lo_u32 v39, s16, v30
	v_mad_u64_u32 v[31:32], s[42:43], s16, v29, 0
	v_add3_u32 v32, v32, v39, v15
	v_lshlrev_b64 v[31:32], 4, v[31:32]
	v_mov_b32_e32 v39, s31
	v_add_co_u32_e32 v15, vcc, s30, v31
	v_addc_co_u32_e32 v39, vcc, v39, v32, vcc
	s_and_saveexec_b64 s[42:43], s[2:3]
	s_cbranch_execz .LBB9_13
; %bb.12:                               ;   in Loop: Header=BB9_9 Depth=1
	v_add_co_u32_e32 v31, vcc, v15, v21
	v_addc_co_u32_e32 v32, vcc, v39, v22, vcc
	global_load_dwordx4 v[40:43], v[31:32], off
	s_waitcnt vmcnt(0)
	ds_write2_b64 v34, v[40:41], v[42:43] offset1:1
.LBB9_13:                               ;   in Loop: Header=BB9_9 Depth=1
	s_or_b64 exec, exec, s[42:43]
	s_mov_b64 s[44:45], 0
	s_mov_b64 s[42:43], 0
                                        ; implicit-def: $vgpr31_vgpr32
	s_and_saveexec_b64 s[46:47], s[0:1]
	s_xor_b64 s[46:47], exec, s[46:47]
; %bb.14:                               ;   in Loop: Header=BB9_9 Depth=1
	v_add_co_u32_e32 v31, vcc, v15, v23
	s_mov_b64 s[42:43], exec
	v_addc_co_u32_e32 v32, vcc, v39, v24, vcc
; %bb.15:                               ;   in Loop: Header=BB9_9 Depth=1
	s_or_b64 exec, exec, s[46:47]
	s_and_b64 vcc, exec, s[44:45]
	s_cbranch_vccnz .LBB9_17
	s_branch .LBB9_22
.LBB9_16:                               ;   in Loop: Header=BB9_9 Depth=1
	s_mov_b64 s[42:43], 0
                                        ; implicit-def: $vgpr31_vgpr32
	s_cbranch_execz .LBB9_22
.LBB9_17:                               ;   in Loop: Header=BB9_9 Depth=1
	v_lshlrev_b64 v[29:30], 4, v[29:30]
	v_mov_b32_e32 v31, s31
	v_add_co_u32_e32 v15, vcc, s30, v29
	v_addc_co_u32_e32 v29, vcc, v31, v30, vcc
	s_and_saveexec_b64 s[44:45], s[2:3]
	s_cbranch_execz .LBB9_19
; %bb.18:                               ;   in Loop: Header=BB9_9 Depth=1
	v_add_co_u32_e32 v30, vcc, v15, v25
	v_addc_co_u32_e32 v31, vcc, v29, v26, vcc
	global_load_dwordx4 v[39:42], v[30:31], off
	s_waitcnt vmcnt(0)
	ds_write2_b64 v34, v[39:40], v[41:42] offset1:1
.LBB9_19:                               ;   in Loop: Header=BB9_9 Depth=1
	s_or_b64 exec, exec, s[44:45]
                                        ; implicit-def: $vgpr31_vgpr32
	s_and_saveexec_b64 s[44:45], s[0:1]
; %bb.20:                               ;   in Loop: Header=BB9_9 Depth=1
	v_add_co_u32_e32 v31, vcc, v15, v27
	v_addc_co_u32_e32 v32, vcc, v29, v28, vcc
	s_or_b64 s[42:43], s[42:43], exec
; %bb.21:                               ;   in Loop: Header=BB9_9 Depth=1
	s_or_b64 exec, exec, s[44:45]
.LBB9_22:                               ;   in Loop: Header=BB9_9 Depth=1
	s_and_b64 exec, exec, s[42:43]
	s_cbranch_execz .LBB9_24
; %bb.23:                               ;   in Loop: Header=BB9_9 Depth=1
	global_load_dwordx4 v[29:32], v[31:32], off
	s_waitcnt vmcnt(0)
	ds_write2_b64 v36, v[29:30], v[31:32] offset1:1
.LBB9_24:                               ;   in Loop: Header=BB9_9 Depth=1
	s_or_b64 exec, exec, s[40:41]
	s_and_saveexec_b64 s[40:41], s[34:35]
	s_cbranch_execz .LBB9_26
; %bb.25:                               ;   in Loop: Header=BB9_9 Depth=1
	s_mul_i32 s15, s7, s14
	v_add_u32_e32 v29, s15, v37
	v_ashrrev_i32_e32 v30, 31, v29
	v_lshlrev_b64 v[29:30], 4, v[29:30]
	s_waitcnt lgkmcnt(0)
	v_mov_b32_e32 v15, s23
	v_add_co_u32_e32 v29, vcc, s22, v29
	v_addc_co_u32_e32 v30, vcc, v15, v30, vcc
	global_load_dwordx4 v[29:32], v[29:30], off
	s_waitcnt vmcnt(0)
	ds_write2_b64 v1, v[29:30], v[31:32] offset1:1
.LBB9_26:                               ;   in Loop: Header=BB9_9 Depth=1
	s_or_b64 exec, exec, s[40:41]
	s_waitcnt lgkmcnt(0)
	; wave barrier
	s_and_saveexec_b64 s[40:41], s[8:9]
	s_cbranch_execz .LBB9_8
; %bb.27:                               ;   in Loop: Header=BB9_9 Depth=1
	s_and_saveexec_b64 s[42:43], s[36:37]
	s_cbranch_execz .LBB9_30
; %bb.28:                               ;   in Loop: Header=BB9_9 Depth=1
	v_mov_b32_e32 v15, v35
	v_mov_b32_e32 v29, v33
	s_mov_b32 s15, s29
.LBB9_29:                               ;   Parent Loop BB9_9 Depth=1
                                        ; =>  This Inner Loop Header: Depth=2
	ds_read_b128 v[39:42], v15
	ds_read_b128 v[43:46], v29
	s_add_i32 s15, s15, -1
	v_add_u32_e32 v29, 16, v29
	s_cmp_lg_u32 s15, 0
	v_add_u32_e32 v15, 16, v15
	s_waitcnt lgkmcnt(0)
	v_fma_f64 v[12:13], v[39:40], v[43:44], v[12:13]
	v_fma_f64 v[10:11], v[41:42], v[43:44], v[10:11]
	v_fma_f64 v[12:13], -v[41:42], v[45:46], v[12:13]
	v_fma_f64 v[10:11], v[39:40], v[45:46], v[10:11]
	s_cbranch_scc1 .LBB9_29
.LBB9_30:                               ;   in Loop: Header=BB9_9 Depth=1
	s_or_b64 exec, exec, s[42:43]
	s_and_saveexec_b64 s[42:43], s[38:39]
	s_cbranch_execz .LBB9_7
; %bb.31:                               ;   in Loop: Header=BB9_9 Depth=1
	v_mov_b32_e32 v15, v35
	s_mov_b32 s15, s29
	v_mov_b32_e32 v29, v38
.LBB9_32:                               ;   Parent Loop BB9_9 Depth=1
                                        ; =>  This Inner Loop Header: Depth=2
	ds_read_b128 v[39:42], v15
	ds_read_b128 v[43:46], v29
	s_add_i32 s15, s15, -1
	v_add_u32_e32 v29, 16, v29
	s_cmp_lg_u32 s15, 0
	v_add_u32_e32 v15, 16, v15
	s_waitcnt lgkmcnt(0)
	v_fma_f64 v[17:18], v[39:40], v[43:44], v[17:18]
	v_fma_f64 v[19:20], v[41:42], v[43:44], v[19:20]
	v_fma_f64 v[17:18], -v[41:42], v[45:46], v[17:18]
	v_fma_f64 v[19:20], v[39:40], v[45:46], v[19:20]
	s_cbranch_scc1 .LBB9_32
	s_branch .LBB9_7
.LBB9_33:
	s_and_b64 s[8:9], s[26:27], s[8:9]
	s_and_b64 exec, exec, s[8:9]
	s_cbranch_execz .LBB9_44
; %bb.34:
	v_cmp_neq_f64_e32 vcc, 0, v[2:3]
	v_cmp_neq_f64_e64 s[8:9], 0, v[4:5]
	s_mul_i32 s6, s28, s6
	v_add_u32_e32 v0, s6, v0
	s_load_dwordx2 s[4:5], s[4:5], 0x68
	v_ashrrev_i32_e32 v1, 31, v0
	v_lshlrev_b64 v[0:1], 4, v[0:1]
	v_mov_b32_e32 v15, s19
	s_or_b64 s[6:7], vcc, s[8:9]
	v_add_co_u32_e32 v0, vcc, s18, v0
	v_addc_co_u32_e32 v1, vcc, v15, v1, vcc
	s_and_saveexec_b64 s[8:9], s[2:3]
	s_cbranch_execz .LBB9_39
; %bb.35:
	v_mul_f64 v[21:22], v[10:11], -v[8:9]
	v_mul_f64 v[23:24], v[6:7], v[10:11]
	v_ashrrev_i32_e32 v15, 31, v16
	s_waitcnt lgkmcnt(0)
	v_mul_lo_u32 v15, s4, v15
	v_fma_f64 v[10:11], v[6:7], v[12:13], v[21:22]
	v_fma_f64 v[12:13], v[8:9], v[12:13], v[23:24]
	v_mul_lo_u32 v21, s5, v16
	s_and_saveexec_b64 s[2:3], s[6:7]
	s_xor_b64 s[2:3], exec, s[2:3]
	s_cbranch_execz .LBB9_37
; %bb.36:
	v_mad_u64_u32 v[22:23], s[10:11], s4, v16, 0
	v_add3_u32 v23, v23, v15, v21
	v_lshlrev_b64 v[15:16], 4, v[22:23]
	v_add_co_u32_e32 v15, vcc, v0, v15
	v_addc_co_u32_e32 v16, vcc, v1, v16, vcc
	global_load_dwordx4 v[21:24], v[15:16], off
	s_waitcnt vmcnt(0)
	v_fma_f64 v[10:11], v[2:3], v[21:22], v[10:11]
	v_fma_f64 v[12:13], v[4:5], v[21:22], v[12:13]
                                        ; implicit-def: $vgpr21
	v_fma_f64 v[10:11], -v[4:5], v[23:24], v[10:11]
	v_fma_f64 v[12:13], v[2:3], v[23:24], v[12:13]
	global_store_dwordx4 v[15:16], v[10:13], off
                                        ; implicit-def: $vgpr16
                                        ; implicit-def: $vgpr15
                                        ; implicit-def: $vgpr10_vgpr11
.LBB9_37:
	s_andn2_saveexec_b64 s[2:3], s[2:3]
	s_cbranch_execz .LBB9_39
; %bb.38:
	v_mad_u64_u32 v[22:23], s[2:3], s4, v16, 0
	v_add3_u32 v23, v23, v15, v21
	v_lshlrev_b64 v[15:16], 4, v[22:23]
	v_add_co_u32_e32 v15, vcc, v0, v15
	v_addc_co_u32_e32 v16, vcc, v1, v16, vcc
	global_store_dwordx4 v[15:16], v[10:13], off
.LBB9_39:
	s_or_b64 exec, exec, s[8:9]
	s_and_b64 exec, exec, s[0:1]
	s_cbranch_execz .LBB9_44
; %bb.40:
	v_mul_f64 v[10:11], v[19:20], -v[8:9]
	v_mul_f64 v[12:13], v[6:7], v[19:20]
	v_fma_f64 v[6:7], v[6:7], v[17:18], v[10:11]
	v_fma_f64 v[8:9], v[8:9], v[17:18], v[12:13]
	v_ashrrev_i32_e32 v10, 31, v14
	s_waitcnt lgkmcnt(0)
	v_mul_lo_u32 v11, s5, v14
	v_mul_lo_u32 v10, s4, v10
	s_and_saveexec_b64 s[0:1], s[6:7]
	s_xor_b64 s[0:1], exec, s[0:1]
	s_cbranch_execz .LBB9_42
; %bb.41:
	v_mad_u64_u32 v[12:13], s[2:3], s4, v14, 0
	v_add3_u32 v13, v13, v10, v11
	v_lshlrev_b64 v[10:11], 4, v[12:13]
	v_add_co_u32_e32 v14, vcc, v0, v10
	v_addc_co_u32_e32 v15, vcc, v1, v11, vcc
	global_load_dwordx4 v[10:13], v[14:15], off
	s_waitcnt vmcnt(0)
	v_fma_f64 v[0:1], v[2:3], v[10:11], v[6:7]
	v_fma_f64 v[6:7], v[4:5], v[10:11], v[8:9]
                                        ; implicit-def: $vgpr10
                                        ; implicit-def: $vgpr11
	v_fma_f64 v[0:1], -v[4:5], v[12:13], v[0:1]
	v_fma_f64 v[2:3], v[2:3], v[12:13], v[6:7]
                                        ; implicit-def: $vgpr6_vgpr7
	global_store_dwordx4 v[14:15], v[0:3], off
                                        ; implicit-def: $vgpr14
                                        ; implicit-def: $vgpr0
                                        ; implicit-def: $vgpr1
.LBB9_42:
	s_andn2_saveexec_b64 s[0:1], s[0:1]
	s_cbranch_execz .LBB9_44
; %bb.43:
	v_mad_u64_u32 v[2:3], s[0:1], s4, v14, 0
	v_add3_u32 v3, v3, v10, v11
	v_lshlrev_b64 v[2:3], 4, v[2:3]
	v_add_co_u32_e32 v0, vcc, v0, v2
	v_addc_co_u32_e32 v1, vcc, v1, v3, vcc
	global_store_dwordx4 v[0:1], v[6:9], off
.LBB9_44:
	s_endpgm
	.section	.rodata,"a",@progbits
	.p2align	6, 0x0
	.amdhsa_kernel _ZN9rocsparseL33gebsrmm_large_blockdim_kernel_extILi8ELi8ELi2E21rocsparse_complex_numIdEEEv20rocsparse_direction_20rocsparse_operation_iiNS_24const_host_device_scalarIT2_EEPKiS9_PKS6_iiSB_lS7_PS6_l21rocsparse_index_base_b
		.amdhsa_group_segment_fixed_size 3072
		.amdhsa_private_segment_fixed_size 0
		.amdhsa_kernarg_size 120
		.amdhsa_user_sgpr_count 6
		.amdhsa_user_sgpr_private_segment_buffer 1
		.amdhsa_user_sgpr_dispatch_ptr 0
		.amdhsa_user_sgpr_queue_ptr 0
		.amdhsa_user_sgpr_kernarg_segment_ptr 1
		.amdhsa_user_sgpr_dispatch_id 0
		.amdhsa_user_sgpr_flat_scratch_init 0
		.amdhsa_user_sgpr_private_segment_size 0
		.amdhsa_uses_dynamic_stack 0
		.amdhsa_system_sgpr_private_segment_wavefront_offset 0
		.amdhsa_system_sgpr_workgroup_id_x 1
		.amdhsa_system_sgpr_workgroup_id_y 1
		.amdhsa_system_sgpr_workgroup_id_z 0
		.amdhsa_system_sgpr_workgroup_info 0
		.amdhsa_system_vgpr_workitem_id 1
		.amdhsa_next_free_vgpr 47
		.amdhsa_next_free_sgpr 93
		.amdhsa_reserve_vcc 1
		.amdhsa_reserve_flat_scratch 0
		.amdhsa_float_round_mode_32 0
		.amdhsa_float_round_mode_16_64 0
		.amdhsa_float_denorm_mode_32 3
		.amdhsa_float_denorm_mode_16_64 3
		.amdhsa_dx10_clamp 1
		.amdhsa_ieee_mode 1
		.amdhsa_fp16_overflow 0
		.amdhsa_exception_fp_ieee_invalid_op 0
		.amdhsa_exception_fp_denorm_src 0
		.amdhsa_exception_fp_ieee_div_zero 0
		.amdhsa_exception_fp_ieee_overflow 0
		.amdhsa_exception_fp_ieee_underflow 0
		.amdhsa_exception_fp_ieee_inexact 0
		.amdhsa_exception_int_div_zero 0
	.end_amdhsa_kernel
	.section	.text._ZN9rocsparseL33gebsrmm_large_blockdim_kernel_extILi8ELi8ELi2E21rocsparse_complex_numIdEEEv20rocsparse_direction_20rocsparse_operation_iiNS_24const_host_device_scalarIT2_EEPKiS9_PKS6_iiSB_lS7_PS6_l21rocsparse_index_base_b,"axG",@progbits,_ZN9rocsparseL33gebsrmm_large_blockdim_kernel_extILi8ELi8ELi2E21rocsparse_complex_numIdEEEv20rocsparse_direction_20rocsparse_operation_iiNS_24const_host_device_scalarIT2_EEPKiS9_PKS6_iiSB_lS7_PS6_l21rocsparse_index_base_b,comdat
.Lfunc_end9:
	.size	_ZN9rocsparseL33gebsrmm_large_blockdim_kernel_extILi8ELi8ELi2E21rocsparse_complex_numIdEEEv20rocsparse_direction_20rocsparse_operation_iiNS_24const_host_device_scalarIT2_EEPKiS9_PKS6_iiSB_lS7_PS6_l21rocsparse_index_base_b, .Lfunc_end9-_ZN9rocsparseL33gebsrmm_large_blockdim_kernel_extILi8ELi8ELi2E21rocsparse_complex_numIdEEEv20rocsparse_direction_20rocsparse_operation_iiNS_24const_host_device_scalarIT2_EEPKiS9_PKS6_iiSB_lS7_PS6_l21rocsparse_index_base_b
                                        ; -- End function
	.set _ZN9rocsparseL33gebsrmm_large_blockdim_kernel_extILi8ELi8ELi2E21rocsparse_complex_numIdEEEv20rocsparse_direction_20rocsparse_operation_iiNS_24const_host_device_scalarIT2_EEPKiS9_PKS6_iiSB_lS7_PS6_l21rocsparse_index_base_b.num_vgpr, 47
	.set _ZN9rocsparseL33gebsrmm_large_blockdim_kernel_extILi8ELi8ELi2E21rocsparse_complex_numIdEEEv20rocsparse_direction_20rocsparse_operation_iiNS_24const_host_device_scalarIT2_EEPKiS9_PKS6_iiSB_lS7_PS6_l21rocsparse_index_base_b.num_agpr, 0
	.set _ZN9rocsparseL33gebsrmm_large_blockdim_kernel_extILi8ELi8ELi2E21rocsparse_complex_numIdEEEv20rocsparse_direction_20rocsparse_operation_iiNS_24const_host_device_scalarIT2_EEPKiS9_PKS6_iiSB_lS7_PS6_l21rocsparse_index_base_b.numbered_sgpr, 48
	.set _ZN9rocsparseL33gebsrmm_large_blockdim_kernel_extILi8ELi8ELi2E21rocsparse_complex_numIdEEEv20rocsparse_direction_20rocsparse_operation_iiNS_24const_host_device_scalarIT2_EEPKiS9_PKS6_iiSB_lS7_PS6_l21rocsparse_index_base_b.num_named_barrier, 0
	.set _ZN9rocsparseL33gebsrmm_large_blockdim_kernel_extILi8ELi8ELi2E21rocsparse_complex_numIdEEEv20rocsparse_direction_20rocsparse_operation_iiNS_24const_host_device_scalarIT2_EEPKiS9_PKS6_iiSB_lS7_PS6_l21rocsparse_index_base_b.private_seg_size, 0
	.set _ZN9rocsparseL33gebsrmm_large_blockdim_kernel_extILi8ELi8ELi2E21rocsparse_complex_numIdEEEv20rocsparse_direction_20rocsparse_operation_iiNS_24const_host_device_scalarIT2_EEPKiS9_PKS6_iiSB_lS7_PS6_l21rocsparse_index_base_b.uses_vcc, 1
	.set _ZN9rocsparseL33gebsrmm_large_blockdim_kernel_extILi8ELi8ELi2E21rocsparse_complex_numIdEEEv20rocsparse_direction_20rocsparse_operation_iiNS_24const_host_device_scalarIT2_EEPKiS9_PKS6_iiSB_lS7_PS6_l21rocsparse_index_base_b.uses_flat_scratch, 0
	.set _ZN9rocsparseL33gebsrmm_large_blockdim_kernel_extILi8ELi8ELi2E21rocsparse_complex_numIdEEEv20rocsparse_direction_20rocsparse_operation_iiNS_24const_host_device_scalarIT2_EEPKiS9_PKS6_iiSB_lS7_PS6_l21rocsparse_index_base_b.has_dyn_sized_stack, 0
	.set _ZN9rocsparseL33gebsrmm_large_blockdim_kernel_extILi8ELi8ELi2E21rocsparse_complex_numIdEEEv20rocsparse_direction_20rocsparse_operation_iiNS_24const_host_device_scalarIT2_EEPKiS9_PKS6_iiSB_lS7_PS6_l21rocsparse_index_base_b.has_recursion, 0
	.set _ZN9rocsparseL33gebsrmm_large_blockdim_kernel_extILi8ELi8ELi2E21rocsparse_complex_numIdEEEv20rocsparse_direction_20rocsparse_operation_iiNS_24const_host_device_scalarIT2_EEPKiS9_PKS6_iiSB_lS7_PS6_l21rocsparse_index_base_b.has_indirect_call, 0
	.section	.AMDGPU.csdata,"",@progbits
; Kernel info:
; codeLenInByte = 1752
; TotalNumSgprs: 52
; NumVgprs: 47
; ScratchSize: 0
; MemoryBound: 0
; FloatMode: 240
; IeeeMode: 1
; LDSByteSize: 3072 bytes/workgroup (compile time only)
; SGPRBlocks: 12
; VGPRBlocks: 11
; NumSGPRsForWavesPerEU: 97
; NumVGPRsForWavesPerEU: 47
; Occupancy: 5
; WaveLimiterHint : 0
; COMPUTE_PGM_RSRC2:SCRATCH_EN: 0
; COMPUTE_PGM_RSRC2:USER_SGPR: 6
; COMPUTE_PGM_RSRC2:TRAP_HANDLER: 0
; COMPUTE_PGM_RSRC2:TGID_X_EN: 1
; COMPUTE_PGM_RSRC2:TGID_Y_EN: 1
; COMPUTE_PGM_RSRC2:TGID_Z_EN: 0
; COMPUTE_PGM_RSRC2:TIDIG_COMP_CNT: 1
	.section	.text._ZN9rocsparseL33gebsrmm_large_blockdim_kernel_extILi16ELi16ELi2E21rocsparse_complex_numIdEEEv20rocsparse_direction_20rocsparse_operation_iiNS_24const_host_device_scalarIT2_EEPKiS9_PKS6_iiSB_lS7_PS6_l21rocsparse_index_base_b,"axG",@progbits,_ZN9rocsparseL33gebsrmm_large_blockdim_kernel_extILi16ELi16ELi2E21rocsparse_complex_numIdEEEv20rocsparse_direction_20rocsparse_operation_iiNS_24const_host_device_scalarIT2_EEPKiS9_PKS6_iiSB_lS7_PS6_l21rocsparse_index_base_b,comdat
	.globl	_ZN9rocsparseL33gebsrmm_large_blockdim_kernel_extILi16ELi16ELi2E21rocsparse_complex_numIdEEEv20rocsparse_direction_20rocsparse_operation_iiNS_24const_host_device_scalarIT2_EEPKiS9_PKS6_iiSB_lS7_PS6_l21rocsparse_index_base_b ; -- Begin function _ZN9rocsparseL33gebsrmm_large_blockdim_kernel_extILi16ELi16ELi2E21rocsparse_complex_numIdEEEv20rocsparse_direction_20rocsparse_operation_iiNS_24const_host_device_scalarIT2_EEPKiS9_PKS6_iiSB_lS7_PS6_l21rocsparse_index_base_b
	.p2align	8
	.type	_ZN9rocsparseL33gebsrmm_large_blockdim_kernel_extILi16ELi16ELi2E21rocsparse_complex_numIdEEEv20rocsparse_direction_20rocsparse_operation_iiNS_24const_host_device_scalarIT2_EEPKiS9_PKS6_iiSB_lS7_PS6_l21rocsparse_index_base_b,@function
_ZN9rocsparseL33gebsrmm_large_blockdim_kernel_extILi16ELi16ELi2E21rocsparse_complex_numIdEEEv20rocsparse_direction_20rocsparse_operation_iiNS_24const_host_device_scalarIT2_EEPKiS9_PKS6_iiSB_lS7_PS6_l21rocsparse_index_base_b: ; @_ZN9rocsparseL33gebsrmm_large_blockdim_kernel_extILi16ELi16ELi2E21rocsparse_complex_numIdEEEv20rocsparse_direction_20rocsparse_operation_iiNS_24const_host_device_scalarIT2_EEPKiS9_PKS6_iiSB_lS7_PS6_l21rocsparse_index_base_b
; %bb.0:
	s_load_dwordx2 s[0:1], s[4:5], 0x10
	s_load_dwordx4 s[16:19], s[4:5], 0x48
	s_load_dwordx2 s[24:25], s[4:5], 0x70
	s_add_u32 s2, s4, 16
	s_addc_u32 s3, s5, 0
	s_add_u32 s8, s4, 0x50
	s_addc_u32 s9, s5, 0
	s_waitcnt lgkmcnt(0)
	s_bitcmp1_b32 s25, 0
	s_cselect_b32 s1, s3, s1
	s_cselect_b32 s0, s2, s0
	v_mov_b32_e32 v2, s0
	v_mov_b32_e32 v3, s1
	flat_load_dwordx4 v[6:9], v[2:3]
	s_cselect_b32 s0, s9, s19
	s_cselect_b32 s1, s8, s18
	v_mov_b32_e32 v2, s1
	v_mov_b32_e32 v3, s0
	flat_load_dwordx4 v[2:5], v[2:3]
	s_waitcnt vmcnt(0) lgkmcnt(0)
	v_cmp_eq_f64_e32 vcc, 0, v[6:7]
	v_cmp_eq_f64_e64 s[0:1], 0, v[8:9]
	s_and_b64 s[8:9], vcc, s[0:1]
	s_mov_b64 s[0:1], -1
	s_and_saveexec_b64 s[2:3], s[8:9]
	s_cbranch_execz .LBB10_2
; %bb.1:
	v_cmp_neq_f64_e32 vcc, 1.0, v[2:3]
	v_cmp_neq_f64_e64 s[0:1], 0, v[4:5]
	s_or_b64 s[0:1], vcc, s[0:1]
	s_orn2_b64 s[0:1], s[0:1], exec
.LBB10_2:
	s_or_b64 exec, exec, s[2:3]
	s_and_saveexec_b64 s[2:3], s[0:1]
	s_cbranch_execz .LBB10_44
; %bb.3:
	s_load_dwordx4 s[12:15], s[4:5], 0x0
	s_mov_b32 s25, 0
	s_waitcnt lgkmcnt(0)
	s_cmp_lt_i32 s6, s14
	s_cselect_b64 s[26:27], -1, 0
	s_cmp_ge_i32 s6, s14
	s_mov_b32 s14, 0
	s_cbranch_scc1 .LBB10_5
; %bb.4:
	s_load_dwordx2 s[2:3], s[4:5], 0x20
	s_mov_b32 s0, s7
	s_ashr_i32 s7, s6, 31
	s_lshl_b64 s[8:9], s[6:7], 2
	s_mov_b32 s7, s0
	s_waitcnt lgkmcnt(0)
	s_add_u32 s0, s2, s8
	s_addc_u32 s1, s3, s9
	s_load_dwordx2 s[2:3], s[0:1], 0x0
	s_waitcnt lgkmcnt(0)
	s_sub_i32 s14, s2, s24
	s_sub_i32 s25, s3, s24
.LBB10_5:
	s_load_dwordx2 s[18:19], s[4:5], 0x60
	s_load_dwordx2 s[28:29], s[4:5], 0x38
	v_lshl_add_u32 v16, s7, 5, v1
	v_add_u32_e32 v14, 16, v16
	v_mov_b32_e32 v19, 0
	v_mov_b32_e32 v17, 0
	;; [unrolled: 1-line block ×4, first 2 shown]
	v_cmp_gt_i32_e64 s[2:3], s15, v16
	v_cmp_gt_i32_e64 s[0:1], s15, v14
	v_mov_b32_e32 v20, 0
	s_cmp_ge_i32 s14, s25
	v_mov_b32_e32 v18, 0
	v_mov_b32_e32 v11, 0
	v_mov_b32_e32 v13, 0
	s_waitcnt lgkmcnt(0)
	v_cmp_gt_i32_e64 s[8:9], s28, v0
	s_cbranch_scc1 .LBB10_33
; %bb.6:
	v_cmp_gt_i32_e32 vcc, s29, v1
	s_and_b64 s[34:35], s[8:9], vcc
	s_cmpk_lg_i32 s13, 0x6f
	s_cselect_b64 s[40:41], -1, 0
	s_cmp_eq_u32 s12, 0
	v_mad_u64_u32 v[10:11], s[12:13], s28, v1, v[0:1]
	v_mad_u64_u32 v[11:12], s[12:13], s29, v0, v[1:2]
	v_mov_b32_e32 v12, 0x2000
	v_ashrrev_i32_e32 v17, 31, v16
	v_ashrrev_i32_e32 v15, 31, v14
	v_lshl_add_u32 v35, v0, 8, v12
	v_mul_lo_u32 v12, s17, v16
	v_mul_lo_u32 v13, s16, v17
	v_mad_u64_u32 v[18:19], s[12:13], s16, v16, 0
	v_mul_lo_u32 v20, s17, v14
	v_mul_lo_u32 v21, s16, v15
	v_mad_u64_u32 v[27:28], s[12:13], s16, v14, 0
	s_load_dwordx4 s[20:23], s[4:5], 0x28
	s_load_dwordx2 s[30:31], s[4:5], 0x40
	v_lshlrev_b32_e32 v33, 8, v1
	s_cselect_b64 vcc, -1, 0
	s_cmp_gt_i32 s29, 0
	v_add3_u32 v19, v19, v13, v12
	v_add3_u32 v28, v28, v21, v20
	v_lshl_add_u32 v34, v0, 4, v33
	s_cselect_b64 s[12:13], -1, 0
	v_cndmask_b32_e32 v37, v10, v11, vcc
	v_mov_b32_e32 v12, 0
	v_cndmask_b32_e64 v29, 0, 1, s[40:41]
	v_lshlrev_b64 v[21:22], 4, v[16:17]
	v_lshlrev_b64 v[23:24], 4, v[14:15]
	;; [unrolled: 1-line block ×4, first 2 shown]
	v_mov_b32_e32 v10, 0
	v_mov_b32_e32 v17, 0
	;; [unrolled: 1-line block ×3, first 2 shown]
	s_mul_i32 s7, s29, s28
	v_cmp_gt_i32_e64 s[10:11], s29, v0
	v_lshl_add_u32 v1, v1, 4, v35
	v_add_u32_e32 v36, 0x1000, v34
	s_and_b64 s[36:37], s[2:3], s[12:13]
	s_and_b64 s[38:39], s[0:1], s[12:13]
	v_add_u32_e32 v38, 0x1000, v33
	v_mov_b32_e32 v13, 0
	v_mov_b32_e32 v11, 0
	;; [unrolled: 1-line block ×4, first 2 shown]
	v_cmp_ne_u32_e64 s[12:13], 1, v29
	s_branch .LBB10_9
.LBB10_7:                               ;   in Loop: Header=BB10_9 Depth=1
	s_or_b64 exec, exec, s[42:43]
.LBB10_8:                               ;   in Loop: Header=BB10_9 Depth=1
	s_or_b64 exec, exec, s[40:41]
	s_add_i32 s14, s14, 1
	s_cmp_ge_i32 s14, s25
	s_barrier
	s_cbranch_scc1 .LBB10_33
.LBB10_9:                               ; =>This Loop Header: Depth=1
                                        ;     Child Loop BB10_29 Depth 2
                                        ;     Child Loop BB10_32 Depth 2
	s_and_saveexec_b64 s[40:41], s[10:11]
	s_cbranch_execz .LBB10_24
; %bb.10:                               ;   in Loop: Header=BB10_9 Depth=1
	s_ashr_i32 s15, s14, 31
	s_lshl_b64 s[42:43], s[14:15], 2
	s_waitcnt lgkmcnt(0)
	s_add_u32 s42, s20, s42
	s_addc_u32 s43, s21, s43
	s_load_dword s15, s[42:43], 0x0
	s_and_b64 vcc, exec, s[12:13]
	s_waitcnt lgkmcnt(0)
	s_sub_i32 s15, s15, s24
	s_mul_i32 s15, s15, s29
	v_add_u32_e32 v29, s15, v0
	v_ashrrev_i32_e32 v30, 31, v29
	s_cbranch_vccnz .LBB10_16
; %bb.11:                               ;   in Loop: Header=BB10_9 Depth=1
	v_mul_lo_u32 v15, s17, v29
	v_mul_lo_u32 v39, s16, v30
	v_mad_u64_u32 v[31:32], s[42:43], s16, v29, 0
	v_add3_u32 v32, v32, v39, v15
	v_lshlrev_b64 v[31:32], 4, v[31:32]
	v_mov_b32_e32 v39, s31
	v_add_co_u32_e32 v15, vcc, s30, v31
	v_addc_co_u32_e32 v39, vcc, v39, v32, vcc
	s_and_saveexec_b64 s[42:43], s[2:3]
	s_cbranch_execz .LBB10_13
; %bb.12:                               ;   in Loop: Header=BB10_9 Depth=1
	v_add_co_u32_e32 v31, vcc, v15, v21
	v_addc_co_u32_e32 v32, vcc, v39, v22, vcc
	global_load_dwordx4 v[40:43], v[31:32], off
	s_waitcnt vmcnt(0)
	ds_write2_b64 v34, v[40:41], v[42:43] offset1:1
.LBB10_13:                              ;   in Loop: Header=BB10_9 Depth=1
	s_or_b64 exec, exec, s[42:43]
	s_mov_b64 s[44:45], 0
	s_mov_b64 s[42:43], 0
                                        ; implicit-def: $vgpr31_vgpr32
	s_and_saveexec_b64 s[46:47], s[0:1]
	s_xor_b64 s[46:47], exec, s[46:47]
; %bb.14:                               ;   in Loop: Header=BB10_9 Depth=1
	v_add_co_u32_e32 v31, vcc, v15, v23
	s_mov_b64 s[42:43], exec
	v_addc_co_u32_e32 v32, vcc, v39, v24, vcc
; %bb.15:                               ;   in Loop: Header=BB10_9 Depth=1
	s_or_b64 exec, exec, s[46:47]
	s_and_b64 vcc, exec, s[44:45]
	s_cbranch_vccnz .LBB10_17
	s_branch .LBB10_22
.LBB10_16:                              ;   in Loop: Header=BB10_9 Depth=1
	s_mov_b64 s[42:43], 0
                                        ; implicit-def: $vgpr31_vgpr32
	s_cbranch_execz .LBB10_22
.LBB10_17:                              ;   in Loop: Header=BB10_9 Depth=1
	v_lshlrev_b64 v[29:30], 4, v[29:30]
	v_mov_b32_e32 v31, s31
	v_add_co_u32_e32 v15, vcc, s30, v29
	v_addc_co_u32_e32 v29, vcc, v31, v30, vcc
	s_and_saveexec_b64 s[44:45], s[2:3]
	s_cbranch_execz .LBB10_19
; %bb.18:                               ;   in Loop: Header=BB10_9 Depth=1
	v_add_co_u32_e32 v30, vcc, v15, v25
	v_addc_co_u32_e32 v31, vcc, v29, v26, vcc
	global_load_dwordx4 v[39:42], v[30:31], off
	s_waitcnt vmcnt(0)
	ds_write2_b64 v34, v[39:40], v[41:42] offset1:1
.LBB10_19:                              ;   in Loop: Header=BB10_9 Depth=1
	s_or_b64 exec, exec, s[44:45]
                                        ; implicit-def: $vgpr31_vgpr32
	s_and_saveexec_b64 s[44:45], s[0:1]
; %bb.20:                               ;   in Loop: Header=BB10_9 Depth=1
	v_add_co_u32_e32 v31, vcc, v15, v27
	v_addc_co_u32_e32 v32, vcc, v29, v28, vcc
	s_or_b64 s[42:43], s[42:43], exec
; %bb.21:                               ;   in Loop: Header=BB10_9 Depth=1
	s_or_b64 exec, exec, s[44:45]
.LBB10_22:                              ;   in Loop: Header=BB10_9 Depth=1
	s_and_b64 exec, exec, s[42:43]
	s_cbranch_execz .LBB10_24
; %bb.23:                               ;   in Loop: Header=BB10_9 Depth=1
	global_load_dwordx4 v[29:32], v[31:32], off
	s_waitcnt vmcnt(0)
	ds_write2_b64 v36, v[29:30], v[31:32] offset1:1
.LBB10_24:                              ;   in Loop: Header=BB10_9 Depth=1
	s_or_b64 exec, exec, s[40:41]
	s_and_saveexec_b64 s[40:41], s[34:35]
	s_cbranch_execz .LBB10_26
; %bb.25:                               ;   in Loop: Header=BB10_9 Depth=1
	s_mul_i32 s15, s7, s14
	v_add_u32_e32 v29, s15, v37
	v_ashrrev_i32_e32 v30, 31, v29
	v_lshlrev_b64 v[29:30], 4, v[29:30]
	s_waitcnt lgkmcnt(0)
	v_mov_b32_e32 v15, s23
	v_add_co_u32_e32 v29, vcc, s22, v29
	v_addc_co_u32_e32 v30, vcc, v15, v30, vcc
	global_load_dwordx4 v[29:32], v[29:30], off
	s_waitcnt vmcnt(0)
	ds_write2_b64 v1, v[29:30], v[31:32] offset1:1
.LBB10_26:                              ;   in Loop: Header=BB10_9 Depth=1
	s_or_b64 exec, exec, s[40:41]
	s_waitcnt lgkmcnt(0)
	s_barrier
	s_and_saveexec_b64 s[40:41], s[8:9]
	s_cbranch_execz .LBB10_8
; %bb.27:                               ;   in Loop: Header=BB10_9 Depth=1
	s_and_saveexec_b64 s[42:43], s[36:37]
	s_cbranch_execz .LBB10_30
; %bb.28:                               ;   in Loop: Header=BB10_9 Depth=1
	v_mov_b32_e32 v15, v35
	v_mov_b32_e32 v29, v33
	s_mov_b32 s15, s29
.LBB10_29:                              ;   Parent Loop BB10_9 Depth=1
                                        ; =>  This Inner Loop Header: Depth=2
	ds_read_b128 v[39:42], v15
	ds_read_b128 v[43:46], v29
	s_add_i32 s15, s15, -1
	v_add_u32_e32 v29, 16, v29
	s_cmp_lg_u32 s15, 0
	v_add_u32_e32 v15, 16, v15
	s_waitcnt lgkmcnt(0)
	v_fma_f64 v[12:13], v[39:40], v[43:44], v[12:13]
	v_fma_f64 v[10:11], v[41:42], v[43:44], v[10:11]
	v_fma_f64 v[12:13], -v[41:42], v[45:46], v[12:13]
	v_fma_f64 v[10:11], v[39:40], v[45:46], v[10:11]
	s_cbranch_scc1 .LBB10_29
.LBB10_30:                              ;   in Loop: Header=BB10_9 Depth=1
	s_or_b64 exec, exec, s[42:43]
	s_and_saveexec_b64 s[42:43], s[38:39]
	s_cbranch_execz .LBB10_7
; %bb.31:                               ;   in Loop: Header=BB10_9 Depth=1
	v_mov_b32_e32 v15, v35
	s_mov_b32 s15, s29
	v_mov_b32_e32 v29, v38
.LBB10_32:                              ;   Parent Loop BB10_9 Depth=1
                                        ; =>  This Inner Loop Header: Depth=2
	ds_read_b128 v[39:42], v15
	ds_read_b128 v[43:46], v29
	s_add_i32 s15, s15, -1
	v_add_u32_e32 v29, 16, v29
	s_cmp_lg_u32 s15, 0
	v_add_u32_e32 v15, 16, v15
	s_waitcnt lgkmcnt(0)
	v_fma_f64 v[17:18], v[39:40], v[43:44], v[17:18]
	v_fma_f64 v[19:20], v[41:42], v[43:44], v[19:20]
	v_fma_f64 v[17:18], -v[41:42], v[45:46], v[17:18]
	v_fma_f64 v[19:20], v[39:40], v[45:46], v[19:20]
	s_cbranch_scc1 .LBB10_32
	s_branch .LBB10_7
.LBB10_33:
	s_and_b64 s[8:9], s[26:27], s[8:9]
	s_and_b64 exec, exec, s[8:9]
	s_cbranch_execz .LBB10_44
; %bb.34:
	v_cmp_neq_f64_e32 vcc, 0, v[2:3]
	v_cmp_neq_f64_e64 s[8:9], 0, v[4:5]
	s_mul_i32 s6, s28, s6
	v_add_u32_e32 v0, s6, v0
	s_load_dwordx2 s[4:5], s[4:5], 0x68
	v_ashrrev_i32_e32 v1, 31, v0
	v_lshlrev_b64 v[0:1], 4, v[0:1]
	v_mov_b32_e32 v15, s19
	s_or_b64 s[6:7], vcc, s[8:9]
	v_add_co_u32_e32 v0, vcc, s18, v0
	v_addc_co_u32_e32 v1, vcc, v15, v1, vcc
	s_and_saveexec_b64 s[8:9], s[2:3]
	s_cbranch_execz .LBB10_39
; %bb.35:
	v_mul_f64 v[21:22], v[10:11], -v[8:9]
	v_mul_f64 v[23:24], v[6:7], v[10:11]
	v_ashrrev_i32_e32 v15, 31, v16
	s_waitcnt lgkmcnt(0)
	v_mul_lo_u32 v15, s4, v15
	v_fma_f64 v[10:11], v[6:7], v[12:13], v[21:22]
	v_fma_f64 v[12:13], v[8:9], v[12:13], v[23:24]
	v_mul_lo_u32 v21, s5, v16
	s_and_saveexec_b64 s[2:3], s[6:7]
	s_xor_b64 s[2:3], exec, s[2:3]
	s_cbranch_execz .LBB10_37
; %bb.36:
	v_mad_u64_u32 v[22:23], s[10:11], s4, v16, 0
	v_add3_u32 v23, v23, v15, v21
	v_lshlrev_b64 v[15:16], 4, v[22:23]
	v_add_co_u32_e32 v15, vcc, v0, v15
	v_addc_co_u32_e32 v16, vcc, v1, v16, vcc
	global_load_dwordx4 v[21:24], v[15:16], off
	s_waitcnt vmcnt(0)
	v_fma_f64 v[10:11], v[2:3], v[21:22], v[10:11]
	v_fma_f64 v[12:13], v[4:5], v[21:22], v[12:13]
                                        ; implicit-def: $vgpr21
	v_fma_f64 v[10:11], -v[4:5], v[23:24], v[10:11]
	v_fma_f64 v[12:13], v[2:3], v[23:24], v[12:13]
	global_store_dwordx4 v[15:16], v[10:13], off
                                        ; implicit-def: $vgpr16
                                        ; implicit-def: $vgpr15
                                        ; implicit-def: $vgpr10_vgpr11
.LBB10_37:
	s_andn2_saveexec_b64 s[2:3], s[2:3]
	s_cbranch_execz .LBB10_39
; %bb.38:
	v_mad_u64_u32 v[22:23], s[2:3], s4, v16, 0
	v_add3_u32 v23, v23, v15, v21
	v_lshlrev_b64 v[15:16], 4, v[22:23]
	v_add_co_u32_e32 v15, vcc, v0, v15
	v_addc_co_u32_e32 v16, vcc, v1, v16, vcc
	global_store_dwordx4 v[15:16], v[10:13], off
.LBB10_39:
	s_or_b64 exec, exec, s[8:9]
	s_and_b64 exec, exec, s[0:1]
	s_cbranch_execz .LBB10_44
; %bb.40:
	v_mul_f64 v[10:11], v[19:20], -v[8:9]
	v_mul_f64 v[12:13], v[6:7], v[19:20]
	v_fma_f64 v[6:7], v[6:7], v[17:18], v[10:11]
	v_fma_f64 v[8:9], v[8:9], v[17:18], v[12:13]
	v_ashrrev_i32_e32 v10, 31, v14
	s_waitcnt lgkmcnt(0)
	v_mul_lo_u32 v11, s5, v14
	v_mul_lo_u32 v10, s4, v10
	s_and_saveexec_b64 s[0:1], s[6:7]
	s_xor_b64 s[0:1], exec, s[0:1]
	s_cbranch_execz .LBB10_42
; %bb.41:
	v_mad_u64_u32 v[12:13], s[2:3], s4, v14, 0
	v_add3_u32 v13, v13, v10, v11
	v_lshlrev_b64 v[10:11], 4, v[12:13]
	v_add_co_u32_e32 v14, vcc, v0, v10
	v_addc_co_u32_e32 v15, vcc, v1, v11, vcc
	global_load_dwordx4 v[10:13], v[14:15], off
	s_waitcnt vmcnt(0)
	v_fma_f64 v[0:1], v[2:3], v[10:11], v[6:7]
	v_fma_f64 v[6:7], v[4:5], v[10:11], v[8:9]
                                        ; implicit-def: $vgpr10
                                        ; implicit-def: $vgpr11
	v_fma_f64 v[0:1], -v[4:5], v[12:13], v[0:1]
	v_fma_f64 v[2:3], v[2:3], v[12:13], v[6:7]
                                        ; implicit-def: $vgpr6_vgpr7
	global_store_dwordx4 v[14:15], v[0:3], off
                                        ; implicit-def: $vgpr14
                                        ; implicit-def: $vgpr0
                                        ; implicit-def: $vgpr1
.LBB10_42:
	s_andn2_saveexec_b64 s[0:1], s[0:1]
	s_cbranch_execz .LBB10_44
; %bb.43:
	v_mad_u64_u32 v[2:3], s[0:1], s4, v14, 0
	v_add3_u32 v3, v3, v10, v11
	v_lshlrev_b64 v[2:3], 4, v[2:3]
	v_add_co_u32_e32 v0, vcc, v0, v2
	v_addc_co_u32_e32 v1, vcc, v1, v3, vcc
	global_store_dwordx4 v[0:1], v[6:9], off
.LBB10_44:
	s_endpgm
	.section	.rodata,"a",@progbits
	.p2align	6, 0x0
	.amdhsa_kernel _ZN9rocsparseL33gebsrmm_large_blockdim_kernel_extILi16ELi16ELi2E21rocsparse_complex_numIdEEEv20rocsparse_direction_20rocsparse_operation_iiNS_24const_host_device_scalarIT2_EEPKiS9_PKS6_iiSB_lS7_PS6_l21rocsparse_index_base_b
		.amdhsa_group_segment_fixed_size 12288
		.amdhsa_private_segment_fixed_size 0
		.amdhsa_kernarg_size 120
		.amdhsa_user_sgpr_count 6
		.amdhsa_user_sgpr_private_segment_buffer 1
		.amdhsa_user_sgpr_dispatch_ptr 0
		.amdhsa_user_sgpr_queue_ptr 0
		.amdhsa_user_sgpr_kernarg_segment_ptr 1
		.amdhsa_user_sgpr_dispatch_id 0
		.amdhsa_user_sgpr_flat_scratch_init 0
		.amdhsa_user_sgpr_private_segment_size 0
		.amdhsa_uses_dynamic_stack 0
		.amdhsa_system_sgpr_private_segment_wavefront_offset 0
		.amdhsa_system_sgpr_workgroup_id_x 1
		.amdhsa_system_sgpr_workgroup_id_y 1
		.amdhsa_system_sgpr_workgroup_id_z 0
		.amdhsa_system_sgpr_workgroup_info 0
		.amdhsa_system_vgpr_workitem_id 1
		.amdhsa_next_free_vgpr 47
		.amdhsa_next_free_sgpr 98
		.amdhsa_reserve_vcc 1
		.amdhsa_reserve_flat_scratch 0
		.amdhsa_float_round_mode_32 0
		.amdhsa_float_round_mode_16_64 0
		.amdhsa_float_denorm_mode_32 3
		.amdhsa_float_denorm_mode_16_64 3
		.amdhsa_dx10_clamp 1
		.amdhsa_ieee_mode 1
		.amdhsa_fp16_overflow 0
		.amdhsa_exception_fp_ieee_invalid_op 0
		.amdhsa_exception_fp_denorm_src 0
		.amdhsa_exception_fp_ieee_div_zero 0
		.amdhsa_exception_fp_ieee_overflow 0
		.amdhsa_exception_fp_ieee_underflow 0
		.amdhsa_exception_fp_ieee_inexact 0
		.amdhsa_exception_int_div_zero 0
	.end_amdhsa_kernel
	.section	.text._ZN9rocsparseL33gebsrmm_large_blockdim_kernel_extILi16ELi16ELi2E21rocsparse_complex_numIdEEEv20rocsparse_direction_20rocsparse_operation_iiNS_24const_host_device_scalarIT2_EEPKiS9_PKS6_iiSB_lS7_PS6_l21rocsparse_index_base_b,"axG",@progbits,_ZN9rocsparseL33gebsrmm_large_blockdim_kernel_extILi16ELi16ELi2E21rocsparse_complex_numIdEEEv20rocsparse_direction_20rocsparse_operation_iiNS_24const_host_device_scalarIT2_EEPKiS9_PKS6_iiSB_lS7_PS6_l21rocsparse_index_base_b,comdat
.Lfunc_end10:
	.size	_ZN9rocsparseL33gebsrmm_large_blockdim_kernel_extILi16ELi16ELi2E21rocsparse_complex_numIdEEEv20rocsparse_direction_20rocsparse_operation_iiNS_24const_host_device_scalarIT2_EEPKiS9_PKS6_iiSB_lS7_PS6_l21rocsparse_index_base_b, .Lfunc_end10-_ZN9rocsparseL33gebsrmm_large_blockdim_kernel_extILi16ELi16ELi2E21rocsparse_complex_numIdEEEv20rocsparse_direction_20rocsparse_operation_iiNS_24const_host_device_scalarIT2_EEPKiS9_PKS6_iiSB_lS7_PS6_l21rocsparse_index_base_b
                                        ; -- End function
	.set _ZN9rocsparseL33gebsrmm_large_blockdim_kernel_extILi16ELi16ELi2E21rocsparse_complex_numIdEEEv20rocsparse_direction_20rocsparse_operation_iiNS_24const_host_device_scalarIT2_EEPKiS9_PKS6_iiSB_lS7_PS6_l21rocsparse_index_base_b.num_vgpr, 47
	.set _ZN9rocsparseL33gebsrmm_large_blockdim_kernel_extILi16ELi16ELi2E21rocsparse_complex_numIdEEEv20rocsparse_direction_20rocsparse_operation_iiNS_24const_host_device_scalarIT2_EEPKiS9_PKS6_iiSB_lS7_PS6_l21rocsparse_index_base_b.num_agpr, 0
	.set _ZN9rocsparseL33gebsrmm_large_blockdim_kernel_extILi16ELi16ELi2E21rocsparse_complex_numIdEEEv20rocsparse_direction_20rocsparse_operation_iiNS_24const_host_device_scalarIT2_EEPKiS9_PKS6_iiSB_lS7_PS6_l21rocsparse_index_base_b.numbered_sgpr, 48
	.set _ZN9rocsparseL33gebsrmm_large_blockdim_kernel_extILi16ELi16ELi2E21rocsparse_complex_numIdEEEv20rocsparse_direction_20rocsparse_operation_iiNS_24const_host_device_scalarIT2_EEPKiS9_PKS6_iiSB_lS7_PS6_l21rocsparse_index_base_b.num_named_barrier, 0
	.set _ZN9rocsparseL33gebsrmm_large_blockdim_kernel_extILi16ELi16ELi2E21rocsparse_complex_numIdEEEv20rocsparse_direction_20rocsparse_operation_iiNS_24const_host_device_scalarIT2_EEPKiS9_PKS6_iiSB_lS7_PS6_l21rocsparse_index_base_b.private_seg_size, 0
	.set _ZN9rocsparseL33gebsrmm_large_blockdim_kernel_extILi16ELi16ELi2E21rocsparse_complex_numIdEEEv20rocsparse_direction_20rocsparse_operation_iiNS_24const_host_device_scalarIT2_EEPKiS9_PKS6_iiSB_lS7_PS6_l21rocsparse_index_base_b.uses_vcc, 1
	.set _ZN9rocsparseL33gebsrmm_large_blockdim_kernel_extILi16ELi16ELi2E21rocsparse_complex_numIdEEEv20rocsparse_direction_20rocsparse_operation_iiNS_24const_host_device_scalarIT2_EEPKiS9_PKS6_iiSB_lS7_PS6_l21rocsparse_index_base_b.uses_flat_scratch, 0
	.set _ZN9rocsparseL33gebsrmm_large_blockdim_kernel_extILi16ELi16ELi2E21rocsparse_complex_numIdEEEv20rocsparse_direction_20rocsparse_operation_iiNS_24const_host_device_scalarIT2_EEPKiS9_PKS6_iiSB_lS7_PS6_l21rocsparse_index_base_b.has_dyn_sized_stack, 0
	.set _ZN9rocsparseL33gebsrmm_large_blockdim_kernel_extILi16ELi16ELi2E21rocsparse_complex_numIdEEEv20rocsparse_direction_20rocsparse_operation_iiNS_24const_host_device_scalarIT2_EEPKiS9_PKS6_iiSB_lS7_PS6_l21rocsparse_index_base_b.has_recursion, 0
	.set _ZN9rocsparseL33gebsrmm_large_blockdim_kernel_extILi16ELi16ELi2E21rocsparse_complex_numIdEEEv20rocsparse_direction_20rocsparse_operation_iiNS_24const_host_device_scalarIT2_EEPKiS9_PKS6_iiSB_lS7_PS6_l21rocsparse_index_base_b.has_indirect_call, 0
	.section	.AMDGPU.csdata,"",@progbits
; Kernel info:
; codeLenInByte = 1760
; TotalNumSgprs: 52
; NumVgprs: 47
; ScratchSize: 0
; MemoryBound: 0
; FloatMode: 240
; IeeeMode: 1
; LDSByteSize: 12288 bytes/workgroup (compile time only)
; SGPRBlocks: 12
; VGPRBlocks: 11
; NumSGPRsForWavesPerEU: 102
; NumVGPRsForWavesPerEU: 47
; Occupancy: 5
; WaveLimiterHint : 0
; COMPUTE_PGM_RSRC2:SCRATCH_EN: 0
; COMPUTE_PGM_RSRC2:USER_SGPR: 6
; COMPUTE_PGM_RSRC2:TRAP_HANDLER: 0
; COMPUTE_PGM_RSRC2:TGID_X_EN: 1
; COMPUTE_PGM_RSRC2:TGID_Y_EN: 1
; COMPUTE_PGM_RSRC2:TGID_Z_EN: 0
; COMPUTE_PGM_RSRC2:TIDIG_COMP_CNT: 1
	.section	.text._ZN9rocsparseL33gebsrmm_large_blockdim_kernel_extILi32ELi32ELi2E21rocsparse_complex_numIdEEEv20rocsparse_direction_20rocsparse_operation_iiNS_24const_host_device_scalarIT2_EEPKiS9_PKS6_iiSB_lS7_PS6_l21rocsparse_index_base_b,"axG",@progbits,_ZN9rocsparseL33gebsrmm_large_blockdim_kernel_extILi32ELi32ELi2E21rocsparse_complex_numIdEEEv20rocsparse_direction_20rocsparse_operation_iiNS_24const_host_device_scalarIT2_EEPKiS9_PKS6_iiSB_lS7_PS6_l21rocsparse_index_base_b,comdat
	.globl	_ZN9rocsparseL33gebsrmm_large_blockdim_kernel_extILi32ELi32ELi2E21rocsparse_complex_numIdEEEv20rocsparse_direction_20rocsparse_operation_iiNS_24const_host_device_scalarIT2_EEPKiS9_PKS6_iiSB_lS7_PS6_l21rocsparse_index_base_b ; -- Begin function _ZN9rocsparseL33gebsrmm_large_blockdim_kernel_extILi32ELi32ELi2E21rocsparse_complex_numIdEEEv20rocsparse_direction_20rocsparse_operation_iiNS_24const_host_device_scalarIT2_EEPKiS9_PKS6_iiSB_lS7_PS6_l21rocsparse_index_base_b
	.p2align	8
	.type	_ZN9rocsparseL33gebsrmm_large_blockdim_kernel_extILi32ELi32ELi2E21rocsparse_complex_numIdEEEv20rocsparse_direction_20rocsparse_operation_iiNS_24const_host_device_scalarIT2_EEPKiS9_PKS6_iiSB_lS7_PS6_l21rocsparse_index_base_b,@function
_ZN9rocsparseL33gebsrmm_large_blockdim_kernel_extILi32ELi32ELi2E21rocsparse_complex_numIdEEEv20rocsparse_direction_20rocsparse_operation_iiNS_24const_host_device_scalarIT2_EEPKiS9_PKS6_iiSB_lS7_PS6_l21rocsparse_index_base_b: ; @_ZN9rocsparseL33gebsrmm_large_blockdim_kernel_extILi32ELi32ELi2E21rocsparse_complex_numIdEEEv20rocsparse_direction_20rocsparse_operation_iiNS_24const_host_device_scalarIT2_EEPKiS9_PKS6_iiSB_lS7_PS6_l21rocsparse_index_base_b
; %bb.0:
	s_load_dwordx2 s[0:1], s[4:5], 0x10
	s_load_dwordx4 s[16:19], s[4:5], 0x48
	s_load_dwordx2 s[24:25], s[4:5], 0x70
	s_add_u32 s2, s4, 16
	s_addc_u32 s3, s5, 0
	s_add_u32 s8, s4, 0x50
	s_addc_u32 s9, s5, 0
	s_waitcnt lgkmcnt(0)
	s_bitcmp1_b32 s25, 0
	s_cselect_b32 s1, s3, s1
	s_cselect_b32 s0, s2, s0
	v_mov_b32_e32 v2, s0
	v_mov_b32_e32 v3, s1
	flat_load_dwordx4 v[6:9], v[2:3]
	s_cselect_b32 s0, s9, s19
	s_cselect_b32 s1, s8, s18
	v_mov_b32_e32 v2, s1
	v_mov_b32_e32 v3, s0
	flat_load_dwordx4 v[2:5], v[2:3]
	s_waitcnt vmcnt(0) lgkmcnt(0)
	v_cmp_eq_f64_e32 vcc, 0, v[6:7]
	v_cmp_eq_f64_e64 s[0:1], 0, v[8:9]
	s_and_b64 s[8:9], vcc, s[0:1]
	s_mov_b64 s[0:1], -1
	s_and_saveexec_b64 s[2:3], s[8:9]
	s_cbranch_execz .LBB11_2
; %bb.1:
	v_cmp_neq_f64_e32 vcc, 1.0, v[2:3]
	v_cmp_neq_f64_e64 s[0:1], 0, v[4:5]
	s_or_b64 s[0:1], vcc, s[0:1]
	s_orn2_b64 s[0:1], s[0:1], exec
.LBB11_2:
	s_or_b64 exec, exec, s[2:3]
	s_and_saveexec_b64 s[2:3], s[0:1]
	s_cbranch_execz .LBB11_44
; %bb.3:
	s_load_dwordx4 s[12:15], s[4:5], 0x0
	s_mov_b32 s25, 0
	s_waitcnt lgkmcnt(0)
	s_cmp_lt_i32 s6, s14
	s_cselect_b64 s[26:27], -1, 0
	s_cmp_ge_i32 s6, s14
	s_mov_b32 s14, 0
	s_cbranch_scc1 .LBB11_5
; %bb.4:
	s_load_dwordx2 s[2:3], s[4:5], 0x20
	s_mov_b32 s0, s7
	s_ashr_i32 s7, s6, 31
	s_lshl_b64 s[8:9], s[6:7], 2
	s_mov_b32 s7, s0
	s_waitcnt lgkmcnt(0)
	s_add_u32 s0, s2, s8
	s_addc_u32 s1, s3, s9
	s_load_dwordx2 s[2:3], s[0:1], 0x0
	s_waitcnt lgkmcnt(0)
	s_sub_i32 s14, s2, s24
	s_sub_i32 s25, s3, s24
.LBB11_5:
	s_load_dwordx2 s[18:19], s[4:5], 0x60
	s_load_dwordx2 s[28:29], s[4:5], 0x38
	v_lshl_add_u32 v16, s7, 6, v1
	v_add_u32_e32 v14, 32, v16
	v_mov_b32_e32 v19, 0
	v_mov_b32_e32 v17, 0
	;; [unrolled: 1-line block ×4, first 2 shown]
	v_cmp_gt_i32_e64 s[2:3], s15, v16
	v_cmp_gt_i32_e64 s[0:1], s15, v14
	v_mov_b32_e32 v20, 0
	s_cmp_ge_i32 s14, s25
	v_mov_b32_e32 v18, 0
	v_mov_b32_e32 v11, 0
	;; [unrolled: 1-line block ×3, first 2 shown]
	s_waitcnt lgkmcnt(0)
	v_cmp_gt_i32_e64 s[8:9], s28, v0
	s_cbranch_scc1 .LBB11_33
; %bb.6:
	v_cmp_gt_i32_e32 vcc, s29, v1
	s_and_b64 s[34:35], s[8:9], vcc
	s_cmpk_lg_i32 s13, 0x6f
	s_cselect_b64 s[40:41], -1, 0
	s_cmp_eq_u32 s12, 0
	v_mad_u64_u32 v[10:11], s[12:13], s28, v1, v[0:1]
	v_mad_u64_u32 v[11:12], s[12:13], s29, v0, v[1:2]
	v_mov_b32_e32 v12, 0x8000
	v_ashrrev_i32_e32 v17, 31, v16
	v_ashrrev_i32_e32 v15, 31, v14
	v_lshl_add_u32 v35, v0, 9, v12
	v_mul_lo_u32 v12, s17, v16
	v_mul_lo_u32 v13, s16, v17
	v_mad_u64_u32 v[18:19], s[12:13], s16, v16, 0
	v_mul_lo_u32 v20, s17, v14
	v_mul_lo_u32 v21, s16, v15
	v_mad_u64_u32 v[27:28], s[12:13], s16, v14, 0
	s_load_dwordx4 s[20:23], s[4:5], 0x28
	s_load_dwordx2 s[30:31], s[4:5], 0x40
	v_lshlrev_b32_e32 v33, 9, v1
	s_cselect_b64 vcc, -1, 0
	s_cmp_gt_i32 s29, 0
	v_add3_u32 v19, v19, v13, v12
	v_add3_u32 v28, v28, v21, v20
	v_lshl_add_u32 v34, v0, 4, v33
	s_cselect_b64 s[12:13], -1, 0
	v_cndmask_b32_e32 v37, v10, v11, vcc
	v_mov_b32_e32 v12, 0
	v_cndmask_b32_e64 v29, 0, 1, s[40:41]
	v_lshlrev_b64 v[21:22], 4, v[16:17]
	v_lshlrev_b64 v[23:24], 4, v[14:15]
	;; [unrolled: 1-line block ×4, first 2 shown]
	v_mov_b32_e32 v10, 0
	v_mov_b32_e32 v17, 0
	;; [unrolled: 1-line block ×3, first 2 shown]
	s_mul_i32 s7, s29, s28
	v_cmp_gt_i32_e64 s[10:11], s29, v0
	v_lshl_add_u32 v1, v1, 4, v35
	v_add_u32_e32 v36, 0x4000, v34
	s_and_b64 s[36:37], s[2:3], s[12:13]
	s_and_b64 s[38:39], s[0:1], s[12:13]
	v_add_u32_e32 v38, 0x4000, v33
	v_mov_b32_e32 v13, 0
	v_mov_b32_e32 v11, 0
	;; [unrolled: 1-line block ×4, first 2 shown]
	v_cmp_ne_u32_e64 s[12:13], 1, v29
	s_branch .LBB11_9
.LBB11_7:                               ;   in Loop: Header=BB11_9 Depth=1
	s_or_b64 exec, exec, s[42:43]
.LBB11_8:                               ;   in Loop: Header=BB11_9 Depth=1
	s_or_b64 exec, exec, s[40:41]
	s_add_i32 s14, s14, 1
	s_cmp_ge_i32 s14, s25
	s_barrier
	s_cbranch_scc1 .LBB11_33
.LBB11_9:                               ; =>This Loop Header: Depth=1
                                        ;     Child Loop BB11_29 Depth 2
                                        ;     Child Loop BB11_32 Depth 2
	s_and_saveexec_b64 s[40:41], s[10:11]
	s_cbranch_execz .LBB11_24
; %bb.10:                               ;   in Loop: Header=BB11_9 Depth=1
	s_ashr_i32 s15, s14, 31
	s_lshl_b64 s[42:43], s[14:15], 2
	s_waitcnt lgkmcnt(0)
	s_add_u32 s42, s20, s42
	s_addc_u32 s43, s21, s43
	s_load_dword s15, s[42:43], 0x0
	s_and_b64 vcc, exec, s[12:13]
	s_waitcnt lgkmcnt(0)
	s_sub_i32 s15, s15, s24
	s_mul_i32 s15, s15, s29
	v_add_u32_e32 v29, s15, v0
	v_ashrrev_i32_e32 v30, 31, v29
	s_cbranch_vccnz .LBB11_16
; %bb.11:                               ;   in Loop: Header=BB11_9 Depth=1
	v_mul_lo_u32 v15, s17, v29
	v_mul_lo_u32 v39, s16, v30
	v_mad_u64_u32 v[31:32], s[42:43], s16, v29, 0
	v_add3_u32 v32, v32, v39, v15
	v_lshlrev_b64 v[31:32], 4, v[31:32]
	v_mov_b32_e32 v39, s31
	v_add_co_u32_e32 v15, vcc, s30, v31
	v_addc_co_u32_e32 v39, vcc, v39, v32, vcc
	s_and_saveexec_b64 s[42:43], s[2:3]
	s_cbranch_execz .LBB11_13
; %bb.12:                               ;   in Loop: Header=BB11_9 Depth=1
	v_add_co_u32_e32 v31, vcc, v15, v21
	v_addc_co_u32_e32 v32, vcc, v39, v22, vcc
	global_load_dwordx4 v[40:43], v[31:32], off
	s_waitcnt vmcnt(0)
	ds_write2_b64 v34, v[40:41], v[42:43] offset1:1
.LBB11_13:                              ;   in Loop: Header=BB11_9 Depth=1
	s_or_b64 exec, exec, s[42:43]
	s_mov_b64 s[44:45], 0
	s_mov_b64 s[42:43], 0
                                        ; implicit-def: $vgpr31_vgpr32
	s_and_saveexec_b64 s[46:47], s[0:1]
	s_xor_b64 s[46:47], exec, s[46:47]
; %bb.14:                               ;   in Loop: Header=BB11_9 Depth=1
	v_add_co_u32_e32 v31, vcc, v15, v23
	s_mov_b64 s[42:43], exec
	v_addc_co_u32_e32 v32, vcc, v39, v24, vcc
; %bb.15:                               ;   in Loop: Header=BB11_9 Depth=1
	s_or_b64 exec, exec, s[46:47]
	s_and_b64 vcc, exec, s[44:45]
	s_cbranch_vccnz .LBB11_17
	s_branch .LBB11_22
.LBB11_16:                              ;   in Loop: Header=BB11_9 Depth=1
	s_mov_b64 s[42:43], 0
                                        ; implicit-def: $vgpr31_vgpr32
	s_cbranch_execz .LBB11_22
.LBB11_17:                              ;   in Loop: Header=BB11_9 Depth=1
	v_lshlrev_b64 v[29:30], 4, v[29:30]
	v_mov_b32_e32 v31, s31
	v_add_co_u32_e32 v15, vcc, s30, v29
	v_addc_co_u32_e32 v29, vcc, v31, v30, vcc
	s_and_saveexec_b64 s[44:45], s[2:3]
	s_cbranch_execz .LBB11_19
; %bb.18:                               ;   in Loop: Header=BB11_9 Depth=1
	v_add_co_u32_e32 v30, vcc, v15, v25
	v_addc_co_u32_e32 v31, vcc, v29, v26, vcc
	global_load_dwordx4 v[39:42], v[30:31], off
	s_waitcnt vmcnt(0)
	ds_write2_b64 v34, v[39:40], v[41:42] offset1:1
.LBB11_19:                              ;   in Loop: Header=BB11_9 Depth=1
	s_or_b64 exec, exec, s[44:45]
                                        ; implicit-def: $vgpr31_vgpr32
	s_and_saveexec_b64 s[44:45], s[0:1]
; %bb.20:                               ;   in Loop: Header=BB11_9 Depth=1
	v_add_co_u32_e32 v31, vcc, v15, v27
	v_addc_co_u32_e32 v32, vcc, v29, v28, vcc
	s_or_b64 s[42:43], s[42:43], exec
; %bb.21:                               ;   in Loop: Header=BB11_9 Depth=1
	s_or_b64 exec, exec, s[44:45]
.LBB11_22:                              ;   in Loop: Header=BB11_9 Depth=1
	s_and_b64 exec, exec, s[42:43]
	s_cbranch_execz .LBB11_24
; %bb.23:                               ;   in Loop: Header=BB11_9 Depth=1
	global_load_dwordx4 v[29:32], v[31:32], off
	s_waitcnt vmcnt(0)
	ds_write2_b64 v36, v[29:30], v[31:32] offset1:1
.LBB11_24:                              ;   in Loop: Header=BB11_9 Depth=1
	s_or_b64 exec, exec, s[40:41]
	s_and_saveexec_b64 s[40:41], s[34:35]
	s_cbranch_execz .LBB11_26
; %bb.25:                               ;   in Loop: Header=BB11_9 Depth=1
	s_mul_i32 s15, s7, s14
	v_add_u32_e32 v29, s15, v37
	v_ashrrev_i32_e32 v30, 31, v29
	v_lshlrev_b64 v[29:30], 4, v[29:30]
	s_waitcnt lgkmcnt(0)
	v_mov_b32_e32 v15, s23
	v_add_co_u32_e32 v29, vcc, s22, v29
	v_addc_co_u32_e32 v30, vcc, v15, v30, vcc
	global_load_dwordx4 v[29:32], v[29:30], off
	s_waitcnt vmcnt(0)
	ds_write2_b64 v1, v[29:30], v[31:32] offset1:1
.LBB11_26:                              ;   in Loop: Header=BB11_9 Depth=1
	s_or_b64 exec, exec, s[40:41]
	s_waitcnt lgkmcnt(0)
	s_barrier
	s_and_saveexec_b64 s[40:41], s[8:9]
	s_cbranch_execz .LBB11_8
; %bb.27:                               ;   in Loop: Header=BB11_9 Depth=1
	s_and_saveexec_b64 s[42:43], s[36:37]
	s_cbranch_execz .LBB11_30
; %bb.28:                               ;   in Loop: Header=BB11_9 Depth=1
	v_mov_b32_e32 v15, v35
	v_mov_b32_e32 v29, v33
	s_mov_b32 s15, s29
.LBB11_29:                              ;   Parent Loop BB11_9 Depth=1
                                        ; =>  This Inner Loop Header: Depth=2
	ds_read_b128 v[39:42], v15
	ds_read_b128 v[43:46], v29
	s_add_i32 s15, s15, -1
	v_add_u32_e32 v29, 16, v29
	s_cmp_lg_u32 s15, 0
	v_add_u32_e32 v15, 16, v15
	s_waitcnt lgkmcnt(0)
	v_fma_f64 v[12:13], v[39:40], v[43:44], v[12:13]
	v_fma_f64 v[10:11], v[41:42], v[43:44], v[10:11]
	v_fma_f64 v[12:13], -v[41:42], v[45:46], v[12:13]
	v_fma_f64 v[10:11], v[39:40], v[45:46], v[10:11]
	s_cbranch_scc1 .LBB11_29
.LBB11_30:                              ;   in Loop: Header=BB11_9 Depth=1
	s_or_b64 exec, exec, s[42:43]
	s_and_saveexec_b64 s[42:43], s[38:39]
	s_cbranch_execz .LBB11_7
; %bb.31:                               ;   in Loop: Header=BB11_9 Depth=1
	v_mov_b32_e32 v15, v35
	s_mov_b32 s15, s29
	v_mov_b32_e32 v29, v38
.LBB11_32:                              ;   Parent Loop BB11_9 Depth=1
                                        ; =>  This Inner Loop Header: Depth=2
	ds_read_b128 v[39:42], v15
	ds_read_b128 v[43:46], v29
	s_add_i32 s15, s15, -1
	v_add_u32_e32 v29, 16, v29
	s_cmp_lg_u32 s15, 0
	v_add_u32_e32 v15, 16, v15
	s_waitcnt lgkmcnt(0)
	v_fma_f64 v[17:18], v[39:40], v[43:44], v[17:18]
	v_fma_f64 v[19:20], v[41:42], v[43:44], v[19:20]
	v_fma_f64 v[17:18], -v[41:42], v[45:46], v[17:18]
	v_fma_f64 v[19:20], v[39:40], v[45:46], v[19:20]
	s_cbranch_scc1 .LBB11_32
	s_branch .LBB11_7
.LBB11_33:
	s_and_b64 s[8:9], s[26:27], s[8:9]
	s_and_b64 exec, exec, s[8:9]
	s_cbranch_execz .LBB11_44
; %bb.34:
	v_cmp_neq_f64_e32 vcc, 0, v[2:3]
	v_cmp_neq_f64_e64 s[8:9], 0, v[4:5]
	s_mul_i32 s6, s28, s6
	v_add_u32_e32 v0, s6, v0
	s_load_dwordx2 s[4:5], s[4:5], 0x68
	v_ashrrev_i32_e32 v1, 31, v0
	v_lshlrev_b64 v[0:1], 4, v[0:1]
	v_mov_b32_e32 v15, s19
	s_or_b64 s[6:7], vcc, s[8:9]
	v_add_co_u32_e32 v0, vcc, s18, v0
	v_addc_co_u32_e32 v1, vcc, v15, v1, vcc
	s_and_saveexec_b64 s[8:9], s[2:3]
	s_cbranch_execz .LBB11_39
; %bb.35:
	v_mul_f64 v[21:22], v[10:11], -v[8:9]
	v_mul_f64 v[23:24], v[6:7], v[10:11]
	v_ashrrev_i32_e32 v15, 31, v16
	s_waitcnt lgkmcnt(0)
	v_mul_lo_u32 v15, s4, v15
	v_fma_f64 v[10:11], v[6:7], v[12:13], v[21:22]
	v_fma_f64 v[12:13], v[8:9], v[12:13], v[23:24]
	v_mul_lo_u32 v21, s5, v16
	s_and_saveexec_b64 s[2:3], s[6:7]
	s_xor_b64 s[2:3], exec, s[2:3]
	s_cbranch_execz .LBB11_37
; %bb.36:
	v_mad_u64_u32 v[22:23], s[10:11], s4, v16, 0
	v_add3_u32 v23, v23, v15, v21
	v_lshlrev_b64 v[15:16], 4, v[22:23]
	v_add_co_u32_e32 v15, vcc, v0, v15
	v_addc_co_u32_e32 v16, vcc, v1, v16, vcc
	global_load_dwordx4 v[21:24], v[15:16], off
	s_waitcnt vmcnt(0)
	v_fma_f64 v[10:11], v[2:3], v[21:22], v[10:11]
	v_fma_f64 v[12:13], v[4:5], v[21:22], v[12:13]
                                        ; implicit-def: $vgpr21
	v_fma_f64 v[10:11], -v[4:5], v[23:24], v[10:11]
	v_fma_f64 v[12:13], v[2:3], v[23:24], v[12:13]
	global_store_dwordx4 v[15:16], v[10:13], off
                                        ; implicit-def: $vgpr16
                                        ; implicit-def: $vgpr15
                                        ; implicit-def: $vgpr10_vgpr11
.LBB11_37:
	s_andn2_saveexec_b64 s[2:3], s[2:3]
	s_cbranch_execz .LBB11_39
; %bb.38:
	v_mad_u64_u32 v[22:23], s[2:3], s4, v16, 0
	v_add3_u32 v23, v23, v15, v21
	v_lshlrev_b64 v[15:16], 4, v[22:23]
	v_add_co_u32_e32 v15, vcc, v0, v15
	v_addc_co_u32_e32 v16, vcc, v1, v16, vcc
	global_store_dwordx4 v[15:16], v[10:13], off
.LBB11_39:
	s_or_b64 exec, exec, s[8:9]
	s_and_b64 exec, exec, s[0:1]
	s_cbranch_execz .LBB11_44
; %bb.40:
	v_mul_f64 v[10:11], v[19:20], -v[8:9]
	v_mul_f64 v[12:13], v[6:7], v[19:20]
	v_fma_f64 v[6:7], v[6:7], v[17:18], v[10:11]
	v_fma_f64 v[8:9], v[8:9], v[17:18], v[12:13]
	v_ashrrev_i32_e32 v10, 31, v14
	s_waitcnt lgkmcnt(0)
	v_mul_lo_u32 v11, s5, v14
	v_mul_lo_u32 v10, s4, v10
	s_and_saveexec_b64 s[0:1], s[6:7]
	s_xor_b64 s[0:1], exec, s[0:1]
	s_cbranch_execz .LBB11_42
; %bb.41:
	v_mad_u64_u32 v[12:13], s[2:3], s4, v14, 0
	v_add3_u32 v13, v13, v10, v11
	v_lshlrev_b64 v[10:11], 4, v[12:13]
	v_add_co_u32_e32 v14, vcc, v0, v10
	v_addc_co_u32_e32 v15, vcc, v1, v11, vcc
	global_load_dwordx4 v[10:13], v[14:15], off
	s_waitcnt vmcnt(0)
	v_fma_f64 v[0:1], v[2:3], v[10:11], v[6:7]
	v_fma_f64 v[6:7], v[4:5], v[10:11], v[8:9]
                                        ; implicit-def: $vgpr10
                                        ; implicit-def: $vgpr11
	v_fma_f64 v[0:1], -v[4:5], v[12:13], v[0:1]
	v_fma_f64 v[2:3], v[2:3], v[12:13], v[6:7]
                                        ; implicit-def: $vgpr6_vgpr7
	global_store_dwordx4 v[14:15], v[0:3], off
                                        ; implicit-def: $vgpr14
                                        ; implicit-def: $vgpr0
                                        ; implicit-def: $vgpr1
.LBB11_42:
	s_andn2_saveexec_b64 s[0:1], s[0:1]
	s_cbranch_execz .LBB11_44
; %bb.43:
	v_mad_u64_u32 v[2:3], s[0:1], s4, v14, 0
	v_add3_u32 v3, v3, v10, v11
	v_lshlrev_b64 v[2:3], 4, v[2:3]
	v_add_co_u32_e32 v0, vcc, v0, v2
	v_addc_co_u32_e32 v1, vcc, v1, v3, vcc
	global_store_dwordx4 v[0:1], v[6:9], off
.LBB11_44:
	s_endpgm
	.section	.rodata,"a",@progbits
	.p2align	6, 0x0
	.amdhsa_kernel _ZN9rocsparseL33gebsrmm_large_blockdim_kernel_extILi32ELi32ELi2E21rocsparse_complex_numIdEEEv20rocsparse_direction_20rocsparse_operation_iiNS_24const_host_device_scalarIT2_EEPKiS9_PKS6_iiSB_lS7_PS6_l21rocsparse_index_base_b
		.amdhsa_group_segment_fixed_size 49152
		.amdhsa_private_segment_fixed_size 0
		.amdhsa_kernarg_size 120
		.amdhsa_user_sgpr_count 6
		.amdhsa_user_sgpr_private_segment_buffer 1
		.amdhsa_user_sgpr_dispatch_ptr 0
		.amdhsa_user_sgpr_queue_ptr 0
		.amdhsa_user_sgpr_kernarg_segment_ptr 1
		.amdhsa_user_sgpr_dispatch_id 0
		.amdhsa_user_sgpr_flat_scratch_init 0
		.amdhsa_user_sgpr_private_segment_size 0
		.amdhsa_uses_dynamic_stack 0
		.amdhsa_system_sgpr_private_segment_wavefront_offset 0
		.amdhsa_system_sgpr_workgroup_id_x 1
		.amdhsa_system_sgpr_workgroup_id_y 1
		.amdhsa_system_sgpr_workgroup_id_z 0
		.amdhsa_system_sgpr_workgroup_info 0
		.amdhsa_system_vgpr_workitem_id 1
		.amdhsa_next_free_vgpr 49
		.amdhsa_next_free_sgpr 98
		.amdhsa_reserve_vcc 1
		.amdhsa_reserve_flat_scratch 0
		.amdhsa_float_round_mode_32 0
		.amdhsa_float_round_mode_16_64 0
		.amdhsa_float_denorm_mode_32 3
		.amdhsa_float_denorm_mode_16_64 3
		.amdhsa_dx10_clamp 1
		.amdhsa_ieee_mode 1
		.amdhsa_fp16_overflow 0
		.amdhsa_exception_fp_ieee_invalid_op 0
		.amdhsa_exception_fp_denorm_src 0
		.amdhsa_exception_fp_ieee_div_zero 0
		.amdhsa_exception_fp_ieee_overflow 0
		.amdhsa_exception_fp_ieee_underflow 0
		.amdhsa_exception_fp_ieee_inexact 0
		.amdhsa_exception_int_div_zero 0
	.end_amdhsa_kernel
	.section	.text._ZN9rocsparseL33gebsrmm_large_blockdim_kernel_extILi32ELi32ELi2E21rocsparse_complex_numIdEEEv20rocsparse_direction_20rocsparse_operation_iiNS_24const_host_device_scalarIT2_EEPKiS9_PKS6_iiSB_lS7_PS6_l21rocsparse_index_base_b,"axG",@progbits,_ZN9rocsparseL33gebsrmm_large_blockdim_kernel_extILi32ELi32ELi2E21rocsparse_complex_numIdEEEv20rocsparse_direction_20rocsparse_operation_iiNS_24const_host_device_scalarIT2_EEPKiS9_PKS6_iiSB_lS7_PS6_l21rocsparse_index_base_b,comdat
.Lfunc_end11:
	.size	_ZN9rocsparseL33gebsrmm_large_blockdim_kernel_extILi32ELi32ELi2E21rocsparse_complex_numIdEEEv20rocsparse_direction_20rocsparse_operation_iiNS_24const_host_device_scalarIT2_EEPKiS9_PKS6_iiSB_lS7_PS6_l21rocsparse_index_base_b, .Lfunc_end11-_ZN9rocsparseL33gebsrmm_large_blockdim_kernel_extILi32ELi32ELi2E21rocsparse_complex_numIdEEEv20rocsparse_direction_20rocsparse_operation_iiNS_24const_host_device_scalarIT2_EEPKiS9_PKS6_iiSB_lS7_PS6_l21rocsparse_index_base_b
                                        ; -- End function
	.set _ZN9rocsparseL33gebsrmm_large_blockdim_kernel_extILi32ELi32ELi2E21rocsparse_complex_numIdEEEv20rocsparse_direction_20rocsparse_operation_iiNS_24const_host_device_scalarIT2_EEPKiS9_PKS6_iiSB_lS7_PS6_l21rocsparse_index_base_b.num_vgpr, 47
	.set _ZN9rocsparseL33gebsrmm_large_blockdim_kernel_extILi32ELi32ELi2E21rocsparse_complex_numIdEEEv20rocsparse_direction_20rocsparse_operation_iiNS_24const_host_device_scalarIT2_EEPKiS9_PKS6_iiSB_lS7_PS6_l21rocsparse_index_base_b.num_agpr, 0
	.set _ZN9rocsparseL33gebsrmm_large_blockdim_kernel_extILi32ELi32ELi2E21rocsparse_complex_numIdEEEv20rocsparse_direction_20rocsparse_operation_iiNS_24const_host_device_scalarIT2_EEPKiS9_PKS6_iiSB_lS7_PS6_l21rocsparse_index_base_b.numbered_sgpr, 48
	.set _ZN9rocsparseL33gebsrmm_large_blockdim_kernel_extILi32ELi32ELi2E21rocsparse_complex_numIdEEEv20rocsparse_direction_20rocsparse_operation_iiNS_24const_host_device_scalarIT2_EEPKiS9_PKS6_iiSB_lS7_PS6_l21rocsparse_index_base_b.num_named_barrier, 0
	.set _ZN9rocsparseL33gebsrmm_large_blockdim_kernel_extILi32ELi32ELi2E21rocsparse_complex_numIdEEEv20rocsparse_direction_20rocsparse_operation_iiNS_24const_host_device_scalarIT2_EEPKiS9_PKS6_iiSB_lS7_PS6_l21rocsparse_index_base_b.private_seg_size, 0
	.set _ZN9rocsparseL33gebsrmm_large_blockdim_kernel_extILi32ELi32ELi2E21rocsparse_complex_numIdEEEv20rocsparse_direction_20rocsparse_operation_iiNS_24const_host_device_scalarIT2_EEPKiS9_PKS6_iiSB_lS7_PS6_l21rocsparse_index_base_b.uses_vcc, 1
	.set _ZN9rocsparseL33gebsrmm_large_blockdim_kernel_extILi32ELi32ELi2E21rocsparse_complex_numIdEEEv20rocsparse_direction_20rocsparse_operation_iiNS_24const_host_device_scalarIT2_EEPKiS9_PKS6_iiSB_lS7_PS6_l21rocsparse_index_base_b.uses_flat_scratch, 0
	.set _ZN9rocsparseL33gebsrmm_large_blockdim_kernel_extILi32ELi32ELi2E21rocsparse_complex_numIdEEEv20rocsparse_direction_20rocsparse_operation_iiNS_24const_host_device_scalarIT2_EEPKiS9_PKS6_iiSB_lS7_PS6_l21rocsparse_index_base_b.has_dyn_sized_stack, 0
	.set _ZN9rocsparseL33gebsrmm_large_blockdim_kernel_extILi32ELi32ELi2E21rocsparse_complex_numIdEEEv20rocsparse_direction_20rocsparse_operation_iiNS_24const_host_device_scalarIT2_EEPKiS9_PKS6_iiSB_lS7_PS6_l21rocsparse_index_base_b.has_recursion, 0
	.set _ZN9rocsparseL33gebsrmm_large_blockdim_kernel_extILi32ELi32ELi2E21rocsparse_complex_numIdEEEv20rocsparse_direction_20rocsparse_operation_iiNS_24const_host_device_scalarIT2_EEPKiS9_PKS6_iiSB_lS7_PS6_l21rocsparse_index_base_b.has_indirect_call, 0
	.section	.AMDGPU.csdata,"",@progbits
; Kernel info:
; codeLenInByte = 1760
; TotalNumSgprs: 52
; NumVgprs: 47
; ScratchSize: 0
; MemoryBound: 0
; FloatMode: 240
; IeeeMode: 1
; LDSByteSize: 49152 bytes/workgroup (compile time only)
; SGPRBlocks: 12
; VGPRBlocks: 12
; NumSGPRsForWavesPerEU: 102
; NumVGPRsForWavesPerEU: 49
; Occupancy: 4
; WaveLimiterHint : 0
; COMPUTE_PGM_RSRC2:SCRATCH_EN: 0
; COMPUTE_PGM_RSRC2:USER_SGPR: 6
; COMPUTE_PGM_RSRC2:TRAP_HANDLER: 0
; COMPUTE_PGM_RSRC2:TGID_X_EN: 1
; COMPUTE_PGM_RSRC2:TGID_Y_EN: 1
; COMPUTE_PGM_RSRC2:TGID_Z_EN: 0
; COMPUTE_PGM_RSRC2:TIDIG_COMP_CNT: 1
	.section	.AMDGPU.gpr_maximums,"",@progbits
	.set amdgpu.max_num_vgpr, 0
	.set amdgpu.max_num_agpr, 0
	.set amdgpu.max_num_sgpr, 0
	.section	.AMDGPU.csdata,"",@progbits
	.type	__hip_cuid_d02ff6e4b50e21b4,@object ; @__hip_cuid_d02ff6e4b50e21b4
	.section	.bss,"aw",@nobits
	.globl	__hip_cuid_d02ff6e4b50e21b4
__hip_cuid_d02ff6e4b50e21b4:
	.byte	0                               ; 0x0
	.size	__hip_cuid_d02ff6e4b50e21b4, 1

	.ident	"AMD clang version 22.0.0git (https://github.com/RadeonOpenCompute/llvm-project roc-7.2.4 26084 f58b06dce1f9c15707c5f808fd002e18c2accf7e)"
	.section	".note.GNU-stack","",@progbits
	.addrsig
	.addrsig_sym __hip_cuid_d02ff6e4b50e21b4
	.amdgpu_metadata
---
amdhsa.kernels:
  - .args:
      - .offset:         0
        .size:           4
        .value_kind:     by_value
      - .offset:         4
        .size:           4
        .value_kind:     by_value
      - .offset:         8
        .size:           4
        .value_kind:     by_value
      - .offset:         12
        .size:           4
        .value_kind:     by_value
      - .offset:         16
        .size:           8
        .value_kind:     by_value
      - .actual_access:  read_only
        .address_space:  global
        .offset:         24
        .size:           8
        .value_kind:     global_buffer
      - .actual_access:  read_only
        .address_space:  global
        .offset:         32
        .size:           8
        .value_kind:     global_buffer
      - .actual_access:  read_only
        .address_space:  global
        .offset:         40
        .size:           8
        .value_kind:     global_buffer
      - .offset:         48
        .size:           4
        .value_kind:     by_value
      - .offset:         52
        .size:           4
        .value_kind:     by_value
      - .actual_access:  read_only
        .address_space:  global
        .offset:         56
        .size:           8
        .value_kind:     global_buffer
      - .offset:         64
        .size:           8
        .value_kind:     by_value
      - .offset:         72
        .size:           8
        .value_kind:     by_value
      - .address_space:  global
        .offset:         80
        .size:           8
        .value_kind:     global_buffer
      - .offset:         88
        .size:           8
        .value_kind:     by_value
      - .offset:         96
        .size:           4
        .value_kind:     by_value
      - .offset:         100
        .size:           1
        .value_kind:     by_value
    .group_segment_fixed_size: 768
    .kernarg_segment_align: 8
    .kernarg_segment_size: 104
    .language:       OpenCL C
    .language_version:
      - 2
      - 0
    .max_flat_workgroup_size: 64
    .name:           _ZN9rocsparseL33gebsrmm_large_blockdim_kernel_extILi8ELi8ELi2EfEEv20rocsparse_direction_20rocsparse_operation_iiNS_24const_host_device_scalarIT2_EEPKiS7_PKS4_iiS9_lS5_PS4_l21rocsparse_index_base_b
    .private_segment_fixed_size: 0
    .sgpr_count:     56
    .sgpr_spill_count: 0
    .symbol:         _ZN9rocsparseL33gebsrmm_large_blockdim_kernel_extILi8ELi8ELi2EfEEv20rocsparse_direction_20rocsparse_operation_iiNS_24const_host_device_scalarIT2_EEPKiS7_PKS4_iiS9_lS5_PS4_l21rocsparse_index_base_b.kd
    .uniform_work_group_size: 1
    .uses_dynamic_stack: false
    .vgpr_count:     25
    .vgpr_spill_count: 0
    .wavefront_size: 64
  - .args:
      - .offset:         0
        .size:           4
        .value_kind:     by_value
      - .offset:         4
        .size:           4
        .value_kind:     by_value
      - .offset:         8
        .size:           4
        .value_kind:     by_value
      - .offset:         12
        .size:           4
        .value_kind:     by_value
      - .offset:         16
        .size:           8
        .value_kind:     by_value
      - .actual_access:  read_only
        .address_space:  global
        .offset:         24
        .size:           8
        .value_kind:     global_buffer
      - .actual_access:  read_only
        .address_space:  global
        .offset:         32
        .size:           8
        .value_kind:     global_buffer
      - .actual_access:  read_only
        .address_space:  global
        .offset:         40
        .size:           8
        .value_kind:     global_buffer
      - .offset:         48
        .size:           4
        .value_kind:     by_value
      - .offset:         52
        .size:           4
        .value_kind:     by_value
      - .actual_access:  read_only
        .address_space:  global
        .offset:         56
        .size:           8
        .value_kind:     global_buffer
      - .offset:         64
        .size:           8
        .value_kind:     by_value
      - .offset:         72
        .size:           8
        .value_kind:     by_value
      - .address_space:  global
        .offset:         80
        .size:           8
        .value_kind:     global_buffer
      - .offset:         88
        .size:           8
        .value_kind:     by_value
      - .offset:         96
        .size:           4
        .value_kind:     by_value
      - .offset:         100
        .size:           1
        .value_kind:     by_value
    .group_segment_fixed_size: 3072
    .kernarg_segment_align: 8
    .kernarg_segment_size: 104
    .language:       OpenCL C
    .language_version:
      - 2
      - 0
    .max_flat_workgroup_size: 256
    .name:           _ZN9rocsparseL33gebsrmm_large_blockdim_kernel_extILi16ELi16ELi2EfEEv20rocsparse_direction_20rocsparse_operation_iiNS_24const_host_device_scalarIT2_EEPKiS7_PKS4_iiS9_lS5_PS4_l21rocsparse_index_base_b
    .private_segment_fixed_size: 0
    .sgpr_count:     56
    .sgpr_spill_count: 0
    .symbol:         _ZN9rocsparseL33gebsrmm_large_blockdim_kernel_extILi16ELi16ELi2EfEEv20rocsparse_direction_20rocsparse_operation_iiNS_24const_host_device_scalarIT2_EEPKiS7_PKS4_iiS9_lS5_PS4_l21rocsparse_index_base_b.kd
    .uniform_work_group_size: 1
    .uses_dynamic_stack: false
    .vgpr_count:     25
    .vgpr_spill_count: 0
    .wavefront_size: 64
  - .args:
      - .offset:         0
        .size:           4
        .value_kind:     by_value
      - .offset:         4
        .size:           4
        .value_kind:     by_value
      - .offset:         8
        .size:           4
        .value_kind:     by_value
      - .offset:         12
        .size:           4
        .value_kind:     by_value
      - .offset:         16
        .size:           8
        .value_kind:     by_value
      - .actual_access:  read_only
        .address_space:  global
        .offset:         24
        .size:           8
        .value_kind:     global_buffer
      - .actual_access:  read_only
        .address_space:  global
        .offset:         32
        .size:           8
        .value_kind:     global_buffer
      - .actual_access:  read_only
        .address_space:  global
        .offset:         40
        .size:           8
        .value_kind:     global_buffer
      - .offset:         48
        .size:           4
        .value_kind:     by_value
      - .offset:         52
        .size:           4
        .value_kind:     by_value
      - .actual_access:  read_only
        .address_space:  global
        .offset:         56
        .size:           8
        .value_kind:     global_buffer
      - .offset:         64
        .size:           8
        .value_kind:     by_value
      - .offset:         72
        .size:           8
        .value_kind:     by_value
      - .address_space:  global
        .offset:         80
        .size:           8
        .value_kind:     global_buffer
      - .offset:         88
        .size:           8
        .value_kind:     by_value
      - .offset:         96
        .size:           4
        .value_kind:     by_value
      - .offset:         100
        .size:           1
        .value_kind:     by_value
    .group_segment_fixed_size: 12288
    .kernarg_segment_align: 8
    .kernarg_segment_size: 104
    .language:       OpenCL C
    .language_version:
      - 2
      - 0
    .max_flat_workgroup_size: 1024
    .name:           _ZN9rocsparseL33gebsrmm_large_blockdim_kernel_extILi32ELi32ELi2EfEEv20rocsparse_direction_20rocsparse_operation_iiNS_24const_host_device_scalarIT2_EEPKiS7_PKS4_iiS9_lS5_PS4_l21rocsparse_index_base_b
    .private_segment_fixed_size: 0
    .sgpr_count:     56
    .sgpr_spill_count: 0
    .symbol:         _ZN9rocsparseL33gebsrmm_large_blockdim_kernel_extILi32ELi32ELi2EfEEv20rocsparse_direction_20rocsparse_operation_iiNS_24const_host_device_scalarIT2_EEPKiS7_PKS4_iiS9_lS5_PS4_l21rocsparse_index_base_b.kd
    .uniform_work_group_size: 1
    .uses_dynamic_stack: false
    .vgpr_count:     25
    .vgpr_spill_count: 0
    .wavefront_size: 64
  - .args:
      - .offset:         0
        .size:           4
        .value_kind:     by_value
      - .offset:         4
        .size:           4
        .value_kind:     by_value
      - .offset:         8
        .size:           4
        .value_kind:     by_value
      - .offset:         12
        .size:           4
        .value_kind:     by_value
      - .offset:         16
        .size:           8
        .value_kind:     by_value
      - .actual_access:  read_only
        .address_space:  global
        .offset:         24
        .size:           8
        .value_kind:     global_buffer
      - .actual_access:  read_only
        .address_space:  global
        .offset:         32
        .size:           8
        .value_kind:     global_buffer
      - .actual_access:  read_only
        .address_space:  global
        .offset:         40
        .size:           8
        .value_kind:     global_buffer
      - .offset:         48
        .size:           4
        .value_kind:     by_value
      - .offset:         52
        .size:           4
        .value_kind:     by_value
      - .actual_access:  read_only
        .address_space:  global
        .offset:         56
        .size:           8
        .value_kind:     global_buffer
      - .offset:         64
        .size:           8
        .value_kind:     by_value
      - .offset:         72
        .size:           8
        .value_kind:     by_value
      - .address_space:  global
        .offset:         80
        .size:           8
        .value_kind:     global_buffer
      - .offset:         88
        .size:           8
        .value_kind:     by_value
      - .offset:         96
        .size:           4
        .value_kind:     by_value
      - .offset:         100
        .size:           1
        .value_kind:     by_value
    .group_segment_fixed_size: 1536
    .kernarg_segment_align: 8
    .kernarg_segment_size: 104
    .language:       OpenCL C
    .language_version:
      - 2
      - 0
    .max_flat_workgroup_size: 64
    .name:           _ZN9rocsparseL33gebsrmm_large_blockdim_kernel_extILi8ELi8ELi2EdEEv20rocsparse_direction_20rocsparse_operation_iiNS_24const_host_device_scalarIT2_EEPKiS7_PKS4_iiS9_lS5_PS4_l21rocsparse_index_base_b
    .private_segment_fixed_size: 0
    .sgpr_count:     52
    .sgpr_spill_count: 0
    .symbol:         _ZN9rocsparseL33gebsrmm_large_blockdim_kernel_extILi8ELi8ELi2EdEEv20rocsparse_direction_20rocsparse_operation_iiNS_24const_host_device_scalarIT2_EEPKiS7_PKS4_iiS9_lS5_PS4_l21rocsparse_index_base_b.kd
    .uniform_work_group_size: 1
    .uses_dynamic_stack: false
    .vgpr_count:     31
    .vgpr_spill_count: 0
    .wavefront_size: 64
  - .args:
      - .offset:         0
        .size:           4
        .value_kind:     by_value
      - .offset:         4
        .size:           4
        .value_kind:     by_value
      - .offset:         8
        .size:           4
        .value_kind:     by_value
      - .offset:         12
        .size:           4
        .value_kind:     by_value
      - .offset:         16
        .size:           8
        .value_kind:     by_value
      - .actual_access:  read_only
        .address_space:  global
        .offset:         24
        .size:           8
        .value_kind:     global_buffer
      - .actual_access:  read_only
        .address_space:  global
        .offset:         32
        .size:           8
        .value_kind:     global_buffer
      - .actual_access:  read_only
        .address_space:  global
        .offset:         40
        .size:           8
        .value_kind:     global_buffer
      - .offset:         48
        .size:           4
        .value_kind:     by_value
      - .offset:         52
        .size:           4
        .value_kind:     by_value
      - .actual_access:  read_only
        .address_space:  global
        .offset:         56
        .size:           8
        .value_kind:     global_buffer
      - .offset:         64
        .size:           8
        .value_kind:     by_value
      - .offset:         72
        .size:           8
        .value_kind:     by_value
      - .address_space:  global
        .offset:         80
        .size:           8
        .value_kind:     global_buffer
      - .offset:         88
        .size:           8
        .value_kind:     by_value
      - .offset:         96
        .size:           4
        .value_kind:     by_value
      - .offset:         100
        .size:           1
        .value_kind:     by_value
    .group_segment_fixed_size: 6144
    .kernarg_segment_align: 8
    .kernarg_segment_size: 104
    .language:       OpenCL C
    .language_version:
      - 2
      - 0
    .max_flat_workgroup_size: 256
    .name:           _ZN9rocsparseL33gebsrmm_large_blockdim_kernel_extILi16ELi16ELi2EdEEv20rocsparse_direction_20rocsparse_operation_iiNS_24const_host_device_scalarIT2_EEPKiS7_PKS4_iiS9_lS5_PS4_l21rocsparse_index_base_b
    .private_segment_fixed_size: 0
    .sgpr_count:     52
    .sgpr_spill_count: 0
    .symbol:         _ZN9rocsparseL33gebsrmm_large_blockdim_kernel_extILi16ELi16ELi2EdEEv20rocsparse_direction_20rocsparse_operation_iiNS_24const_host_device_scalarIT2_EEPKiS7_PKS4_iiS9_lS5_PS4_l21rocsparse_index_base_b.kd
    .uniform_work_group_size: 1
    .uses_dynamic_stack: false
    .vgpr_count:     30
    .vgpr_spill_count: 0
    .wavefront_size: 64
  - .args:
      - .offset:         0
        .size:           4
        .value_kind:     by_value
      - .offset:         4
        .size:           4
        .value_kind:     by_value
      - .offset:         8
        .size:           4
        .value_kind:     by_value
      - .offset:         12
        .size:           4
        .value_kind:     by_value
      - .offset:         16
        .size:           8
        .value_kind:     by_value
      - .actual_access:  read_only
        .address_space:  global
        .offset:         24
        .size:           8
        .value_kind:     global_buffer
      - .actual_access:  read_only
        .address_space:  global
        .offset:         32
        .size:           8
        .value_kind:     global_buffer
      - .actual_access:  read_only
        .address_space:  global
        .offset:         40
        .size:           8
        .value_kind:     global_buffer
      - .offset:         48
        .size:           4
        .value_kind:     by_value
      - .offset:         52
        .size:           4
        .value_kind:     by_value
      - .actual_access:  read_only
        .address_space:  global
        .offset:         56
        .size:           8
        .value_kind:     global_buffer
      - .offset:         64
        .size:           8
        .value_kind:     by_value
      - .offset:         72
        .size:           8
        .value_kind:     by_value
      - .address_space:  global
        .offset:         80
        .size:           8
        .value_kind:     global_buffer
      - .offset:         88
        .size:           8
        .value_kind:     by_value
      - .offset:         96
        .size:           4
        .value_kind:     by_value
      - .offset:         100
        .size:           1
        .value_kind:     by_value
    .group_segment_fixed_size: 24576
    .kernarg_segment_align: 8
    .kernarg_segment_size: 104
    .language:       OpenCL C
    .language_version:
      - 2
      - 0
    .max_flat_workgroup_size: 1024
    .name:           _ZN9rocsparseL33gebsrmm_large_blockdim_kernel_extILi32ELi32ELi2EdEEv20rocsparse_direction_20rocsparse_operation_iiNS_24const_host_device_scalarIT2_EEPKiS7_PKS4_iiS9_lS5_PS4_l21rocsparse_index_base_b
    .private_segment_fixed_size: 0
    .sgpr_count:     52
    .sgpr_spill_count: 0
    .symbol:         _ZN9rocsparseL33gebsrmm_large_blockdim_kernel_extILi32ELi32ELi2EdEEv20rocsparse_direction_20rocsparse_operation_iiNS_24const_host_device_scalarIT2_EEPKiS7_PKS4_iiS9_lS5_PS4_l21rocsparse_index_base_b.kd
    .uniform_work_group_size: 1
    .uses_dynamic_stack: false
    .vgpr_count:     30
    .vgpr_spill_count: 0
    .wavefront_size: 64
  - .args:
      - .offset:         0
        .size:           4
        .value_kind:     by_value
      - .offset:         4
        .size:           4
        .value_kind:     by_value
      - .offset:         8
        .size:           4
        .value_kind:     by_value
      - .offset:         12
        .size:           4
        .value_kind:     by_value
      - .offset:         16
        .size:           8
        .value_kind:     by_value
      - .actual_access:  read_only
        .address_space:  global
        .offset:         24
        .size:           8
        .value_kind:     global_buffer
      - .actual_access:  read_only
        .address_space:  global
        .offset:         32
        .size:           8
        .value_kind:     global_buffer
      - .actual_access:  read_only
        .address_space:  global
        .offset:         40
        .size:           8
        .value_kind:     global_buffer
      - .offset:         48
        .size:           4
        .value_kind:     by_value
      - .offset:         52
        .size:           4
        .value_kind:     by_value
      - .actual_access:  read_only
        .address_space:  global
        .offset:         56
        .size:           8
        .value_kind:     global_buffer
      - .offset:         64
        .size:           8
        .value_kind:     by_value
      - .offset:         72
        .size:           8
        .value_kind:     by_value
      - .address_space:  global
        .offset:         80
        .size:           8
        .value_kind:     global_buffer
      - .offset:         88
        .size:           8
        .value_kind:     by_value
      - .offset:         96
        .size:           4
        .value_kind:     by_value
      - .offset:         100
        .size:           1
        .value_kind:     by_value
    .group_segment_fixed_size: 1536
    .kernarg_segment_align: 8
    .kernarg_segment_size: 104
    .language:       OpenCL C
    .language_version:
      - 2
      - 0
    .max_flat_workgroup_size: 64
    .name:           _ZN9rocsparseL33gebsrmm_large_blockdim_kernel_extILi8ELi8ELi2E21rocsparse_complex_numIfEEEv20rocsparse_direction_20rocsparse_operation_iiNS_24const_host_device_scalarIT2_EEPKiS9_PKS6_iiSB_lS7_PS6_l21rocsparse_index_base_b
    .private_segment_fixed_size: 0
    .sgpr_count:     52
    .sgpr_spill_count: 0
    .symbol:         _ZN9rocsparseL33gebsrmm_large_blockdim_kernel_extILi8ELi8ELi2E21rocsparse_complex_numIfEEEv20rocsparse_direction_20rocsparse_operation_iiNS_24const_host_device_scalarIT2_EEPKiS9_PKS6_iiSB_lS7_PS6_l21rocsparse_index_base_b.kd
    .uniform_work_group_size: 1
    .uses_dynamic_stack: false
    .vgpr_count:     31
    .vgpr_spill_count: 0
    .wavefront_size: 64
  - .args:
      - .offset:         0
        .size:           4
        .value_kind:     by_value
      - .offset:         4
        .size:           4
        .value_kind:     by_value
      - .offset:         8
        .size:           4
        .value_kind:     by_value
      - .offset:         12
        .size:           4
        .value_kind:     by_value
      - .offset:         16
        .size:           8
        .value_kind:     by_value
      - .actual_access:  read_only
        .address_space:  global
        .offset:         24
        .size:           8
        .value_kind:     global_buffer
      - .actual_access:  read_only
        .address_space:  global
        .offset:         32
        .size:           8
        .value_kind:     global_buffer
      - .actual_access:  read_only
        .address_space:  global
        .offset:         40
        .size:           8
        .value_kind:     global_buffer
      - .offset:         48
        .size:           4
        .value_kind:     by_value
      - .offset:         52
        .size:           4
        .value_kind:     by_value
      - .actual_access:  read_only
        .address_space:  global
        .offset:         56
        .size:           8
        .value_kind:     global_buffer
      - .offset:         64
        .size:           8
        .value_kind:     by_value
      - .offset:         72
        .size:           8
        .value_kind:     by_value
      - .address_space:  global
        .offset:         80
        .size:           8
        .value_kind:     global_buffer
      - .offset:         88
        .size:           8
        .value_kind:     by_value
      - .offset:         96
        .size:           4
        .value_kind:     by_value
      - .offset:         100
        .size:           1
        .value_kind:     by_value
    .group_segment_fixed_size: 6144
    .kernarg_segment_align: 8
    .kernarg_segment_size: 104
    .language:       OpenCL C
    .language_version:
      - 2
      - 0
    .max_flat_workgroup_size: 256
    .name:           _ZN9rocsparseL33gebsrmm_large_blockdim_kernel_extILi16ELi16ELi2E21rocsparse_complex_numIfEEEv20rocsparse_direction_20rocsparse_operation_iiNS_24const_host_device_scalarIT2_EEPKiS9_PKS6_iiSB_lS7_PS6_l21rocsparse_index_base_b
    .private_segment_fixed_size: 0
    .sgpr_count:     52
    .sgpr_spill_count: 0
    .symbol:         _ZN9rocsparseL33gebsrmm_large_blockdim_kernel_extILi16ELi16ELi2E21rocsparse_complex_numIfEEEv20rocsparse_direction_20rocsparse_operation_iiNS_24const_host_device_scalarIT2_EEPKiS9_PKS6_iiSB_lS7_PS6_l21rocsparse_index_base_b.kd
    .uniform_work_group_size: 1
    .uses_dynamic_stack: false
    .vgpr_count:     31
    .vgpr_spill_count: 0
    .wavefront_size: 64
  - .args:
      - .offset:         0
        .size:           4
        .value_kind:     by_value
      - .offset:         4
        .size:           4
        .value_kind:     by_value
      - .offset:         8
        .size:           4
        .value_kind:     by_value
      - .offset:         12
        .size:           4
        .value_kind:     by_value
      - .offset:         16
        .size:           8
        .value_kind:     by_value
      - .actual_access:  read_only
        .address_space:  global
        .offset:         24
        .size:           8
        .value_kind:     global_buffer
      - .actual_access:  read_only
        .address_space:  global
        .offset:         32
        .size:           8
        .value_kind:     global_buffer
      - .actual_access:  read_only
        .address_space:  global
        .offset:         40
        .size:           8
        .value_kind:     global_buffer
      - .offset:         48
        .size:           4
        .value_kind:     by_value
      - .offset:         52
        .size:           4
        .value_kind:     by_value
      - .actual_access:  read_only
        .address_space:  global
        .offset:         56
        .size:           8
        .value_kind:     global_buffer
      - .offset:         64
        .size:           8
        .value_kind:     by_value
      - .offset:         72
        .size:           8
        .value_kind:     by_value
      - .address_space:  global
        .offset:         80
        .size:           8
        .value_kind:     global_buffer
      - .offset:         88
        .size:           8
        .value_kind:     by_value
      - .offset:         96
        .size:           4
        .value_kind:     by_value
      - .offset:         100
        .size:           1
        .value_kind:     by_value
    .group_segment_fixed_size: 24576
    .kernarg_segment_align: 8
    .kernarg_segment_size: 104
    .language:       OpenCL C
    .language_version:
      - 2
      - 0
    .max_flat_workgroup_size: 1024
    .name:           _ZN9rocsparseL33gebsrmm_large_blockdim_kernel_extILi32ELi32ELi2E21rocsparse_complex_numIfEEEv20rocsparse_direction_20rocsparse_operation_iiNS_24const_host_device_scalarIT2_EEPKiS9_PKS6_iiSB_lS7_PS6_l21rocsparse_index_base_b
    .private_segment_fixed_size: 0
    .sgpr_count:     52
    .sgpr_spill_count: 0
    .symbol:         _ZN9rocsparseL33gebsrmm_large_blockdim_kernel_extILi32ELi32ELi2E21rocsparse_complex_numIfEEEv20rocsparse_direction_20rocsparse_operation_iiNS_24const_host_device_scalarIT2_EEPKiS9_PKS6_iiSB_lS7_PS6_l21rocsparse_index_base_b.kd
    .uniform_work_group_size: 1
    .uses_dynamic_stack: false
    .vgpr_count:     30
    .vgpr_spill_count: 0
    .wavefront_size: 64
  - .args:
      - .offset:         0
        .size:           4
        .value_kind:     by_value
      - .offset:         4
        .size:           4
        .value_kind:     by_value
      - .offset:         8
        .size:           4
        .value_kind:     by_value
      - .offset:         12
        .size:           4
        .value_kind:     by_value
      - .offset:         16
        .size:           16
        .value_kind:     by_value
      - .actual_access:  read_only
        .address_space:  global
        .offset:         32
        .size:           8
        .value_kind:     global_buffer
      - .actual_access:  read_only
        .address_space:  global
        .offset:         40
        .size:           8
        .value_kind:     global_buffer
      - .actual_access:  read_only
        .address_space:  global
        .offset:         48
        .size:           8
        .value_kind:     global_buffer
      - .offset:         56
        .size:           4
        .value_kind:     by_value
      - .offset:         60
        .size:           4
        .value_kind:     by_value
      - .actual_access:  read_only
        .address_space:  global
        .offset:         64
        .size:           8
        .value_kind:     global_buffer
      - .offset:         72
        .size:           8
        .value_kind:     by_value
      - .offset:         80
        .size:           16
        .value_kind:     by_value
      - .address_space:  global
        .offset:         96
        .size:           8
        .value_kind:     global_buffer
      - .offset:         104
        .size:           8
        .value_kind:     by_value
      - .offset:         112
        .size:           4
        .value_kind:     by_value
      - .offset:         116
        .size:           1
        .value_kind:     by_value
    .group_segment_fixed_size: 3072
    .kernarg_segment_align: 8
    .kernarg_segment_size: 120
    .language:       OpenCL C
    .language_version:
      - 2
      - 0
    .max_flat_workgroup_size: 64
    .name:           _ZN9rocsparseL33gebsrmm_large_blockdim_kernel_extILi8ELi8ELi2E21rocsparse_complex_numIdEEEv20rocsparse_direction_20rocsparse_operation_iiNS_24const_host_device_scalarIT2_EEPKiS9_PKS6_iiSB_lS7_PS6_l21rocsparse_index_base_b
    .private_segment_fixed_size: 0
    .sgpr_count:     52
    .sgpr_spill_count: 0
    .symbol:         _ZN9rocsparseL33gebsrmm_large_blockdim_kernel_extILi8ELi8ELi2E21rocsparse_complex_numIdEEEv20rocsparse_direction_20rocsparse_operation_iiNS_24const_host_device_scalarIT2_EEPKiS9_PKS6_iiSB_lS7_PS6_l21rocsparse_index_base_b.kd
    .uniform_work_group_size: 1
    .uses_dynamic_stack: false
    .vgpr_count:     47
    .vgpr_spill_count: 0
    .wavefront_size: 64
  - .args:
      - .offset:         0
        .size:           4
        .value_kind:     by_value
      - .offset:         4
        .size:           4
        .value_kind:     by_value
      - .offset:         8
        .size:           4
        .value_kind:     by_value
      - .offset:         12
        .size:           4
        .value_kind:     by_value
      - .offset:         16
        .size:           16
        .value_kind:     by_value
      - .actual_access:  read_only
        .address_space:  global
        .offset:         32
        .size:           8
        .value_kind:     global_buffer
      - .actual_access:  read_only
        .address_space:  global
        .offset:         40
        .size:           8
        .value_kind:     global_buffer
      - .actual_access:  read_only
        .address_space:  global
        .offset:         48
        .size:           8
        .value_kind:     global_buffer
      - .offset:         56
        .size:           4
        .value_kind:     by_value
      - .offset:         60
        .size:           4
        .value_kind:     by_value
      - .actual_access:  read_only
        .address_space:  global
        .offset:         64
        .size:           8
        .value_kind:     global_buffer
      - .offset:         72
        .size:           8
        .value_kind:     by_value
      - .offset:         80
        .size:           16
        .value_kind:     by_value
      - .address_space:  global
        .offset:         96
        .size:           8
        .value_kind:     global_buffer
      - .offset:         104
        .size:           8
        .value_kind:     by_value
      - .offset:         112
        .size:           4
        .value_kind:     by_value
      - .offset:         116
        .size:           1
        .value_kind:     by_value
    .group_segment_fixed_size: 12288
    .kernarg_segment_align: 8
    .kernarg_segment_size: 120
    .language:       OpenCL C
    .language_version:
      - 2
      - 0
    .max_flat_workgroup_size: 256
    .name:           _ZN9rocsparseL33gebsrmm_large_blockdim_kernel_extILi16ELi16ELi2E21rocsparse_complex_numIdEEEv20rocsparse_direction_20rocsparse_operation_iiNS_24const_host_device_scalarIT2_EEPKiS9_PKS6_iiSB_lS7_PS6_l21rocsparse_index_base_b
    .private_segment_fixed_size: 0
    .sgpr_count:     52
    .sgpr_spill_count: 0
    .symbol:         _ZN9rocsparseL33gebsrmm_large_blockdim_kernel_extILi16ELi16ELi2E21rocsparse_complex_numIdEEEv20rocsparse_direction_20rocsparse_operation_iiNS_24const_host_device_scalarIT2_EEPKiS9_PKS6_iiSB_lS7_PS6_l21rocsparse_index_base_b.kd
    .uniform_work_group_size: 1
    .uses_dynamic_stack: false
    .vgpr_count:     47
    .vgpr_spill_count: 0
    .wavefront_size: 64
  - .args:
      - .offset:         0
        .size:           4
        .value_kind:     by_value
      - .offset:         4
        .size:           4
        .value_kind:     by_value
      - .offset:         8
        .size:           4
        .value_kind:     by_value
      - .offset:         12
        .size:           4
        .value_kind:     by_value
      - .offset:         16
        .size:           16
        .value_kind:     by_value
      - .actual_access:  read_only
        .address_space:  global
        .offset:         32
        .size:           8
        .value_kind:     global_buffer
      - .actual_access:  read_only
        .address_space:  global
        .offset:         40
        .size:           8
        .value_kind:     global_buffer
      - .actual_access:  read_only
        .address_space:  global
        .offset:         48
        .size:           8
        .value_kind:     global_buffer
      - .offset:         56
        .size:           4
        .value_kind:     by_value
      - .offset:         60
        .size:           4
        .value_kind:     by_value
      - .actual_access:  read_only
        .address_space:  global
        .offset:         64
        .size:           8
        .value_kind:     global_buffer
      - .offset:         72
        .size:           8
        .value_kind:     by_value
      - .offset:         80
        .size:           16
        .value_kind:     by_value
      - .address_space:  global
        .offset:         96
        .size:           8
        .value_kind:     global_buffer
      - .offset:         104
        .size:           8
        .value_kind:     by_value
      - .offset:         112
        .size:           4
        .value_kind:     by_value
      - .offset:         116
        .size:           1
        .value_kind:     by_value
    .group_segment_fixed_size: 49152
    .kernarg_segment_align: 8
    .kernarg_segment_size: 120
    .language:       OpenCL C
    .language_version:
      - 2
      - 0
    .max_flat_workgroup_size: 1024
    .name:           _ZN9rocsparseL33gebsrmm_large_blockdim_kernel_extILi32ELi32ELi2E21rocsparse_complex_numIdEEEv20rocsparse_direction_20rocsparse_operation_iiNS_24const_host_device_scalarIT2_EEPKiS9_PKS6_iiSB_lS7_PS6_l21rocsparse_index_base_b
    .private_segment_fixed_size: 0
    .sgpr_count:     52
    .sgpr_spill_count: 0
    .symbol:         _ZN9rocsparseL33gebsrmm_large_blockdim_kernel_extILi32ELi32ELi2E21rocsparse_complex_numIdEEEv20rocsparse_direction_20rocsparse_operation_iiNS_24const_host_device_scalarIT2_EEPKiS9_PKS6_iiSB_lS7_PS6_l21rocsparse_index_base_b.kd
    .uniform_work_group_size: 1
    .uses_dynamic_stack: false
    .vgpr_count:     47
    .vgpr_spill_count: 0
    .wavefront_size: 64
amdhsa.target:   amdgcn-amd-amdhsa--gfx906
amdhsa.version:
  - 1
  - 2
...

	.end_amdgpu_metadata
